;; amdgpu-corpus repo=vllm-project/vllm kind=compiled arch=gfx90a opt=O3
	.text
	.amdgcn_target "amdgcn-amd-amdhsa--gfx90a"
	.amdhsa_code_object_version 6
	.protected	_ZN4vllm4gptq31reconstruct_exllama_8bit_kernelEPKjPKiS2_PK6__halfiiibPS5_ ; -- Begin function _ZN4vllm4gptq31reconstruct_exllama_8bit_kernelEPKjPKiS2_PK6__halfiiibPS5_
	.globl	_ZN4vllm4gptq31reconstruct_exllama_8bit_kernelEPKjPKiS2_PK6__halfiiibPS5_
	.p2align	8
	.type	_ZN4vllm4gptq31reconstruct_exllama_8bit_kernelEPKjPKiS2_PK6__halfiiibPS5_,@function
_ZN4vllm4gptq31reconstruct_exllama_8bit_kernelEPKjPKiS2_PK6__halfiiibPS5_: ; @_ZN4vllm4gptq31reconstruct_exllama_8bit_kernelEPKjPKiS2_PK6__halfiiibPS5_
; %bb.0:
	s_load_dwordx2 s[0:1], s[4:5], 0x8
	s_load_dwordx4 s[8:11], s[4:5], 0x20
	s_lshl_b32 s16, s7, 7
	s_waitcnt lgkmcnt(0)
	s_cmp_lg_u64 s[0:1], 0
	s_cselect_b64 s[2:3], -1, 0
	s_cmp_eq_u64 s[0:1], 0
	s_cbranch_scc1 .LBB0_4
; %bb.1:
	v_add_u32_e32 v2, s16, v0
	v_cmp_gt_u32_e32 vcc, s8, v2
	s_and_saveexec_b64 s[12:13], vcc
	s_cbranch_execz .LBB0_3
; %bb.2:
	v_mov_b32_e32 v3, 0
	v_lshlrev_b64 v[2:3], 2, v[2:3]
	v_mov_b32_e32 v1, s1
	v_add_co_u32_e32 v2, vcc, s0, v2
	v_addc_co_u32_e32 v3, vcc, v1, v3, vcc
	global_load_dword v1, v[2:3], off
	v_lshlrev_b32_e32 v2, 2, v0
	s_waitcnt vmcnt(0)
	ds_write_b32 v2, v1
.LBB0_3:
	s_or_b64 exec, exec, s[12:13]
.LBB0_4:
	s_lshl_b32 s17, s6, 9
	v_lshlrev_b32_e32 v10, 2, v0
	v_add_u32_e32 v8, s17, v10
	v_cmp_gt_i32_e32 vcc, s9, v8
	s_and_saveexec_b64 s[0:1], vcc
	s_cbranch_execz .LBB0_17
; %bb.5:
	s_abs_i32 s0, s10
	v_cvt_f32_u32_e32 v0, s0
	s_xor_b32 s6, s8, s10
	s_sub_i32 s10, 0, s0
	s_abs_i32 s7, s8
	v_rcp_iflag_f32_e32 v0, v0
	s_add_i32 s1, s16, 0x80
	s_ashr_i32 s6, s6, 31
	s_waitcnt lgkmcnt(0)
	v_mul_f32_e32 v0, 0x4f7ffffe, v0
	v_cvt_u32_f32_e32 v0, v0
	s_barrier
	v_readfirstlane_b32 s12, v0
	s_mul_i32 s10, s10, s12
	s_mul_hi_u32 s10, s12, s10
	s_add_i32 s12, s12, s10
	s_mul_hi_u32 s10, s7, s12
	s_mul_i32 s12, s10, s0
	s_sub_i32 s7, s7, s12
	s_add_i32 s13, s10, 1
	s_sub_i32 s12, s7, s0
	s_cmp_ge_u32 s7, s0
	s_cselect_b32 s10, s13, s10
	s_cselect_b32 s7, s12, s7
	s_add_i32 s12, s10, 1
	s_cmp_ge_u32 s7, s0
	s_cselect_b32 s0, s12, s10
	s_xor_b32 s0, s0, s6
	s_sub_i32 s18, s0, s6
	v_cvt_f32_u32_e32 v2, s18
	v_cvt_f64_i32_e32 v[0:1], s8
	s_mov_b32 s8, 0
	v_rcp_iflag_f32_e32 v4, v2
	v_cvt_f64_u32_e32 v[2:3], s1
	v_min_f64 v[0:1], v[2:3], v[0:1]
	v_cvt_i32_f64_e32 v26, v[0:1]
	v_mul_f32_e32 v2, 0x4f7ffffe, v4
	v_cvt_u32_f32_e32 v2, v2
	v_cmp_ge_i32_e32 vcc, s16, v26
	v_readfirstlane_b32 s0, v2
	s_cbranch_vccnz .LBB0_17
; %bb.6:
	s_sub_i32 s1, 0, s18
	s_mul_i32 s1, s1, s0
	s_mul_hi_u32 s1, s0, s1
	s_add_i32 s0, s0, s1
	s_mul_hi_u32 s0, s16, s0
	s_mul_i32 s1, s0, s18
	s_sub_i32 s1, s16, s1
	s_add_i32 s6, s0, 1
	s_sub_i32 s7, s1, s18
	s_cmp_ge_u32 s1, s18
	s_cselect_b32 s0, s6, s0
	s_cselect_b32 s1, s7, s1
	s_add_i32 s6, s0, 1
	s_cmp_ge_u32 s1, s18
	s_cselect_b32 s19, s6, s0
	s_mul_i32 s0, s19, s9
	s_load_dwordx4 s[12:15], s[4:5], 0x10
	s_ashr_i32 s1, s0, 31
	s_lshr_b32 s1, s1, 30
	s_add_i32 s1, s0, s1
	v_add_u32_e32 v2, s0, v8
	s_ashr_i32 s1, s1, 2
	v_ashrrev_i32_e32 v27, 2, v8
	v_ashrrev_i32_e32 v3, 31, v2
	v_add_u32_e32 v0, s1, v27
	v_lshlrev_b64 v[2:3], 1, v[2:3]
	v_ashrrev_i32_e32 v1, 31, v0
	s_waitcnt lgkmcnt(0)
	v_mov_b32_e32 v29, s15
	v_add_co_u32_e32 v2, vcc, s14, v2
	v_lshlrev_b64 v[0:1], 2, v[0:1]
	v_addc_co_u32_e32 v3, vcc, v29, v3, vcc
	v_mov_b32_e32 v28, s13
	v_add_co_u32_e32 v0, vcc, s12, v0
	v_addc_co_u32_e32 v1, vcc, v28, v1, vcc
	global_load_dwordx2 v[2:3], v[2:3], off
	s_bitcmp1_b32 s11, 0
	global_load_dword v4, v[0:1], off
	s_load_dwordx2 s[0:1], s[4:5], 0x0
	s_load_dwordx2 s[6:7], s[4:5], 0x30
	s_cselect_b64 s[4:5], -1, 0
	v_ashrrev_i32_e32 v9, 31, v8
	s_lshr_b32 s11, s16, 2
	s_xor_b64 s[4:5], s[4:5], -1
	v_lshlrev_b64 v[0:1], 2, v[8:9]
	v_cndmask_b32_e64 v9, 0, 1, s[4:5]
	s_mul_i32 s4, s11, s9
	s_ashr_i32 s5, s4, 31
	s_lshl_b64 s[4:5], s[4:5], 2
	s_waitcnt lgkmcnt(0)
	s_add_u32 s0, s0, s4
	s_addc_u32 s1, s1, s5
	s_mov_b32 s13, 0x7060302
	s_mov_b32 s15, 0x5040100
	;; [unrolled: 1-line block ×3, first 2 shown]
	s_ashr_i32 s11, s9, 31
	v_mov_b32_e32 v5, s1
	v_add_co_u32_e32 v12, vcc, s0, v0
	s_mov_b32 s20, s9
	v_mov_b32_e32 v11, v8
	s_add_i32 s21, s18, s16
	s_add_i32 s22, s16, 7
	;; [unrolled: 1-line block ×3, first 2 shown]
	s_lshl_b32 s24, s9, 3
	s_add_i32 s25, s16, 5
	s_add_i32 s26, s16, 4
	;; [unrolled: 1-line block ×5, first 2 shown]
	s_lshl_b64 s[4:5], s[10:11], 3
	s_lshl_b64 s[10:11], s[10:11], 2
	v_addc_co_u32_e32 v13, vcc, v5, v1, vcc
	s_mov_b32 s30, s16
	s_waitcnt vmcnt(1)
	v_perm_b32 v33, v3, v3, s13
	v_perm_b32 v30, v3, v3, s15
	;; [unrolled: 1-line block ×4, first 2 shown]
	s_waitcnt vmcnt(0)
	v_and_b32_e32 v34, 0xff, v4
	v_bfe_u32 v35, v4, 8, 8
	v_bfe_u32 v36, v4, 16, 8
	v_lshrrev_b32_e32 v37, 24, v4
	s_branch .LBB0_8
.LBB0_7:                                ;   in Loop: Header=BB0_8 Depth=1
	s_add_i32 s30, s30, 32
	v_mov_b32_e32 v0, s5
	v_cmp_ge_i32_e32 vcc, s30, v26
	v_add_co_u32_e64 v12, s[0:1], s4, v12
	v_addc_co_u32_e64 v13, s[0:1], v13, v0, s[0:1]
	s_cbranch_vccnz .LBB0_17
.LBB0_8:                                ; =>This Loop Header: Depth=1
                                        ;     Child Loop BB0_11 Depth 2
	s_cmp_lg_u32 s30, s21
	s_cbranch_scc1 .LBB0_10
; %bb.9:                                ;   in Loop: Header=BB0_8 Depth=1
	s_add_i32 s19, s19, 1
	s_mul_i32 s0, s19, s9
	s_ashr_i32 s1, s0, 31
	s_lshr_b32 s1, s1, 30
	s_add_i32 s1, s0, s1
	v_add_u32_e32 v2, s0, v8
	s_ashr_i32 s1, s1, 2
	v_ashrrev_i32_e32 v3, 31, v2
	v_add_u32_e32 v0, s1, v27
	v_lshlrev_b64 v[2:3], 1, v[2:3]
	v_ashrrev_i32_e32 v1, 31, v0
	v_add_co_u32_e32 v2, vcc, s14, v2
	v_lshlrev_b64 v[0:1], 2, v[0:1]
	v_addc_co_u32_e32 v3, vcc, v29, v3, vcc
	v_add_co_u32_e32 v0, vcc, s12, v0
	v_addc_co_u32_e32 v1, vcc, v28, v1, vcc
	global_load_dwordx2 v[2:3], v[2:3], off
	s_add_i32 s21, s21, s18
	global_load_dword v0, v[0:1], off
	s_waitcnt vmcnt(1)
	v_perm_b32 v32, v2, v2, s15
	v_perm_b32 v31, v2, v2, s13
	;; [unrolled: 1-line block ×3, first 2 shown]
	s_waitcnt vmcnt(0)
	v_and_b32_e32 v34, 0xff, v0
	v_bfe_u32 v35, v0, 8, 8
	v_bfe_u32 v36, v0, 16, 8
	v_lshrrev_b32_e32 v37, 24, v0
	v_perm_b32 v33, v3, v3, s13
.LBB0_10:                               ;   in Loop: Header=BB0_8 Depth=1
	s_add_i32 s0, s23, s8
	s_mul_i32 s0, s9, s0
	s_add_i32 s31, s17, s0
	s_add_i32 s0, s25, s8
	s_mul_i32 s0, s9, s0
	s_add_i32 s33, s17, s0
	;; [unrolled: 3-line block ×6, first 2 shown]
	s_add_i32 s0, s16, s8
	s_mul_i32 s0, s9, s0
	v_add_u32_e32 v38, v34, v9
	v_add_u32_e32 v39, v35, v9
	;; [unrolled: 1-line block ×4, first 2 shown]
	s_add_i32 s38, s17, s0
	s_lshl_b32 s39, s8, 2
	s_mov_b32 s40, 0
.LBB0_11:                               ;   Parent Loop BB0_8 Depth=1
                                        ; =>  This Inner Loop Header: Depth=2
	v_mov_b32_e32 v0, s11
	v_add_co_u32_e32 v14, vcc, s10, v12
	v_addc_co_u32_e32 v15, vcc, v13, v0, vcc
	global_load_dwordx4 v[4:7], v[12:13], off
	global_load_dwordx4 v[0:3], v[14:15], off
	s_andn2_b64 vcc, exec, s[2:3]
	s_waitcnt vmcnt(1)
	v_sub_u32_sdwa v16, v4, v38 dst_sel:DWORD dst_unused:UNUSED_PAD src0_sel:BYTE_0 src1_sel:DWORD
	v_sub_u32_sdwa v17, v4, v38 dst_sel:DWORD dst_unused:UNUSED_PAD src0_sel:BYTE_1 src1_sel:DWORD
	v_sub_u32_sdwa v18, v4, v38 dst_sel:DWORD dst_unused:UNUSED_PAD src0_sel:BYTE_2 src1_sel:DWORD
	v_sub_u32_sdwa v4, v4, v38 dst_sel:DWORD dst_unused:UNUSED_PAD src0_sel:BYTE_3 src1_sel:DWORD
	v_sub_u32_sdwa v19, v5, v39 dst_sel:DWORD dst_unused:UNUSED_PAD src0_sel:BYTE_0 src1_sel:DWORD
	v_sub_u32_sdwa v20, v5, v39 dst_sel:DWORD dst_unused:UNUSED_PAD src0_sel:BYTE_1 src1_sel:DWORD
	v_sub_u32_sdwa v22, v6, v40 dst_sel:DWORD dst_unused:UNUSED_PAD src0_sel:BYTE_0 src1_sel:DWORD
	v_sub_u32_sdwa v23, v6, v40 dst_sel:DWORD dst_unused:UNUSED_PAD src0_sel:BYTE_1 src1_sel:DWORD
	v_sub_u32_sdwa v24, v6, v40 dst_sel:DWORD dst_unused:UNUSED_PAD src0_sel:BYTE_2 src1_sel:DWORD
	v_sub_u32_sdwa v6, v6, v40 dst_sel:DWORD dst_unused:UNUSED_PAD src0_sel:BYTE_3 src1_sel:DWORD
	s_waitcnt vmcnt(0)
	v_sub_u32_sdwa v42, v0, v38 dst_sel:DWORD dst_unused:UNUSED_PAD src0_sel:BYTE_0 src1_sel:DWORD
	v_sub_u32_sdwa v43, v0, v38 dst_sel:DWORD dst_unused:UNUSED_PAD src0_sel:BYTE_1 src1_sel:DWORD
	v_cvt_f32_i32_e32 v16, v16
	v_cvt_f32_i32_e32 v17, v17
	;; [unrolled: 1-line block ×12, first 2 shown]
	v_cvt_f16_f32_e32 v16, v16
	v_cvt_f16_f32_e32 v17, v17
	;; [unrolled: 1-line block ×12, first 2 shown]
	v_sub_u32_sdwa v25, v7, v41 dst_sel:DWORD dst_unused:UNUSED_PAD src0_sel:BYTE_0 src1_sel:DWORD
	v_sub_u32_sdwa v21, v5, v39 dst_sel:DWORD dst_unused:UNUSED_PAD src0_sel:BYTE_2 src1_sel:DWORD
	v_sub_u32_sdwa v5, v5, v39 dst_sel:DWORD dst_unused:UNUSED_PAD src0_sel:BYTE_3 src1_sel:DWORD
	v_sub_u32_sdwa v44, v0, v38 dst_sel:DWORD dst_unused:UNUSED_PAD src0_sel:BYTE_2 src1_sel:DWORD
	v_sub_u32_sdwa v0, v0, v38 dst_sel:DWORD dst_unused:UNUSED_PAD src0_sel:BYTE_3 src1_sel:DWORD
	v_sub_u32_sdwa v45, v1, v39 dst_sel:DWORD dst_unused:UNUSED_PAD src0_sel:BYTE_0 src1_sel:DWORD
	v_sub_u32_sdwa v46, v1, v39 dst_sel:DWORD dst_unused:UNUSED_PAD src0_sel:BYTE_1 src1_sel:DWORD
	v_sub_u32_sdwa v47, v1, v39 dst_sel:DWORD dst_unused:UNUSED_PAD src0_sel:BYTE_2 src1_sel:DWORD
	v_sub_u32_sdwa v1, v1, v39 dst_sel:DWORD dst_unused:UNUSED_PAD src0_sel:BYTE_3 src1_sel:DWORD
	v_sub_u32_sdwa v48, v2, v40 dst_sel:DWORD dst_unused:UNUSED_PAD src0_sel:BYTE_0 src1_sel:DWORD
	v_sub_u32_sdwa v49, v2, v40 dst_sel:DWORD dst_unused:UNUSED_PAD src0_sel:BYTE_1 src1_sel:DWORD
	v_sub_u32_sdwa v50, v2, v40 dst_sel:DWORD dst_unused:UNUSED_PAD src0_sel:BYTE_2 src1_sel:DWORD
	v_sub_u32_sdwa v2, v2, v40 dst_sel:DWORD dst_unused:UNUSED_PAD src0_sel:BYTE_3 src1_sel:DWORD
	v_pack_b32_f16 v16, v16, v17
	v_pack_b32_f16 v4, v18, v4
	;; [unrolled: 1-line block ×6, first 2 shown]
	v_cvt_f32_i32_e32 v22, v25
	v_sub_u32_sdwa v23, v7, v41 dst_sel:DWORD dst_unused:UNUSED_PAD src0_sel:BYTE_1 src1_sel:DWORD
	v_sub_u32_sdwa v24, v7, v41 dst_sel:DWORD dst_unused:UNUSED_PAD src0_sel:BYTE_2 src1_sel:DWORD
	v_sub_u32_sdwa v7, v7, v41 dst_sel:DWORD dst_unused:UNUSED_PAD src0_sel:BYTE_3 src1_sel:DWORD
	v_sub_u32_sdwa v25, v3, v41 dst_sel:DWORD dst_unused:UNUSED_PAD src0_sel:BYTE_0 src1_sel:DWORD
	v_sub_u32_sdwa v42, v3, v41 dst_sel:DWORD dst_unused:UNUSED_PAD src0_sel:BYTE_1 src1_sel:DWORD
	v_sub_u32_sdwa v43, v3, v41 dst_sel:DWORD dst_unused:UNUSED_PAD src0_sel:BYTE_2 src1_sel:DWORD
	v_sub_u32_sdwa v3, v3, v41 dst_sel:DWORD dst_unused:UNUSED_PAD src0_sel:BYTE_3 src1_sel:DWORD
	v_cvt_f32_i32_e32 v21, v21
	v_cvt_f32_i32_e32 v5, v5
	;; [unrolled: 1-line block ×19, first 2 shown]
	v_cvt_f16_f32_e32 v21, v21
	v_cvt_f16_f32_e32 v5, v5
	;; [unrolled: 1-line block ×20, first 2 shown]
	v_pack_b32_f16 v5, v21, v5
	v_pack_b32_f16 v0, v44, v0
	;; [unrolled: 1-line block ×10, first 2 shown]
	v_pk_mul_f16 v42, v32, v16
	v_pk_mul_f16 v43, v31, v17
	;; [unrolled: 1-line block ×16, first 2 shown]
	v_perm_b32 v16, v43, v42, s13
	v_perm_b32 v17, v22, v18, s13
	;; [unrolled: 1-line block ×4, first 2 shown]
	v_pack_b32_f16 v18, v4, v5
	v_pack_b32_f16 v19, v46, v7
	v_perm_b32 v6, v5, v4, s13
	v_perm_b32 v7, v7, v46, s13
	v_pack_b32_f16 v4, v47, v48
	v_pack_b32_f16 v5, v49, v23
	v_perm_b32 v2, v48, v47, s13
	v_perm_b32 v3, v23, v49, s13
	;; [unrolled: 4-line block ×3, first 2 shown]
	s_cbranch_vccnz .LBB0_16
; %bb.12:                               ;   in Loop: Header=BB0_11 Depth=2
	s_add_i32 s0, s39, s40
	v_mov_b32_e32 v22, s0
	ds_read2_b32 v[46:47], v22 offset1:1
	ds_read2_b32 v[48:49], v22 offset0:2 offset1:3
	ds_read2_b32 v[50:51], v22 offset0:4 offset1:5
	;; [unrolled: 1-line block ×3, first 2 shown]
	v_mov_b32_e32 v54, s7
	s_waitcnt lgkmcnt(3)
	v_mul_lo_u32 v52, v46, s20
	v_add_u32_e32 v52, v52, v8
	v_mul_lo_u32 v46, v47, s9
	v_ashrrev_i32_e32 v53, 31, v52
	v_add_u32_e32 v46, v46, v11
	v_lshlrev_b64 v[52:53], 1, v[52:53]
	v_add_co_u32_e32 v52, vcc, s6, v52
	v_ashrrev_i32_e32 v47, 31, v46
	v_addc_co_u32_e32 v53, vcc, v54, v53, vcc
	v_lshlrev_b64 v[46:47], 1, v[46:47]
	v_add_co_u32_e32 v46, vcc, s6, v46
	v_addc_co_u32_e32 v47, vcc, v54, v47, vcc
	global_store_dwordx2 v[52:53], v[20:21], off
	global_store_dwordx2 v[46:47], v[16:17], off
	s_waitcnt lgkmcnt(2)
	v_mul_lo_u32 v47, v48, s20
	v_add_u32_e32 v48, v47, v8
	v_mul_lo_u32 v46, v49, s9
	v_ashrrev_i32_e32 v49, 31, v48
	v_add_u32_e32 v46, v46, v11
	v_lshlrev_b64 v[48:49], 1, v[48:49]
	v_add_co_u32_e32 v48, vcc, s6, v48
	v_ashrrev_i32_e32 v47, 31, v46
	v_addc_co_u32_e32 v49, vcc, v54, v49, vcc
	v_lshlrev_b64 v[46:47], 1, v[46:47]
	v_add_co_u32_e32 v46, vcc, s6, v46
	v_addc_co_u32_e32 v47, vcc, v54, v47, vcc
	global_store_dwordx2 v[48:49], v[18:19], off
	global_store_dwordx2 v[46:47], v[6:7], off
	s_waitcnt lgkmcnt(1)
	v_mul_lo_u32 v47, v50, s20
	v_add_u32_e32 v48, v47, v8
	v_mul_lo_u32 v46, v51, s9
	v_ashrrev_i32_e32 v49, 31, v48
	v_add_u32_e32 v46, v46, v11
	v_lshlrev_b64 v[48:49], 1, v[48:49]
	v_add_co_u32_e32 v48, vcc, s6, v48
	v_ashrrev_i32_e32 v47, 31, v46
	v_addc_co_u32_e32 v49, vcc, v54, v49, vcc
	v_lshlrev_b64 v[46:47], 1, v[46:47]
	v_add_co_u32_e32 v46, vcc, s6, v46
	v_addc_co_u32_e32 v47, vcc, v54, v47, vcc
	s_waitcnt lgkmcnt(0)
	v_mul_lo_u32 v22, v22, s9
	global_store_dwordx2 v[48:49], v[4:5], off
	global_store_dwordx2 v[46:47], v[2:3], off
	v_add_u32_e32 v46, v22, v8
	v_ashrrev_i32_e32 v47, 31, v46
	v_lshlrev_b64 v[46:47], 1, v[46:47]
	v_add_co_u32_e32 v46, vcc, s6, v46
	v_addc_co_u32_e32 v47, vcc, v54, v47, vcc
	v_perm_b32 v24, v25, v24, s13
	v_perm_b32 v25, v45, v44, s13
	global_store_dwordx2 v[46:47], v[0:1], off
	s_cbranch_execnz .LBB0_14
.LBB0_13:                               ;   in Loop: Header=BB0_11 Depth=2
	v_add_u32_e32 v22, s38, v10
	v_ashrrev_i32_e32 v23, 31, v22
	v_lshlrev_b64 v[22:23], 1, v[22:23]
	v_mov_b32_e32 v24, s7
	v_add_co_u32_e32 v22, vcc, s6, v22
	v_addc_co_u32_e32 v23, vcc, v24, v23, vcc
	global_store_dwordx2 v[22:23], v[20:21], off
	v_add_u32_e32 v20, s35, v10
	v_ashrrev_i32_e32 v21, 31, v20
	v_lshlrev_b64 v[20:21], 1, v[20:21]
	v_add_co_u32_e32 v20, vcc, s6, v20
	v_addc_co_u32_e32 v21, vcc, v24, v21, vcc
	global_store_dwordx2 v[20:21], v[16:17], off
	v_add_u32_e32 v16, s37, v10
	v_ashrrev_i32_e32 v17, 31, v16
	v_lshlrev_b64 v[16:17], 1, v[16:17]
	;; [unrolled: 6-line block ×6, first 2 shown]
	v_add_co_u32_e32 v2, vcc, s6, v2
	s_add_i32 s0, s22, s8
	v_addc_co_u32_e32 v3, vcc, v24, v3, vcc
	v_mov_b32_e32 v23, s0
	v_mov_b32_e32 v24, v42
	;; [unrolled: 1-line block ×3, first 2 shown]
	global_store_dwordx2 v[2:3], v[0:1], off
.LBB0_14:                               ;   in Loop: Header=BB0_11 Depth=2
	v_mul_lo_u32 v0, v23, s9
	v_add_u32_e32 v0, v0, v8
	v_ashrrev_i32_e32 v1, 31, v0
	v_lshlrev_b64 v[0:1], 1, v[0:1]
	v_mov_b32_e32 v2, s7
	v_add_co_u32_e32 v0, vcc, s6, v0
	v_addc_co_u32_e32 v1, vcc, v2, v1, vcc
	global_store_dwordx2 v[0:1], v[24:25], off
	s_add_i32 s8, s8, 8
	s_add_i32 s31, s31, s24
	;; [unrolled: 1-line block ×9, first 2 shown]
	v_mov_b32_e32 v1, s11
	v_add_co_u32_e32 v0, vcc, s10, v14
	s_cmpk_eq_i32 s40, 0x80
	v_addc_co_u32_e32 v1, vcc, v15, v1, vcc
	s_cbranch_scc1 .LBB0_7
; %bb.15:                               ;   in Loop: Header=BB0_11 Depth=2
	v_pk_mov_b32 v[12:13], v[0:1], v[0:1] op_sel:[0,1]
	s_branch .LBB0_11
.LBB0_16:                               ;   in Loop: Header=BB0_11 Depth=2
                                        ; implicit-def: $vgpr25
                                        ; implicit-def: $vgpr23
	s_branch .LBB0_13
.LBB0_17:
	s_endpgm
	.section	.rodata,"a",@progbits
	.p2align	6, 0x0
	.amdhsa_kernel _ZN4vllm4gptq31reconstruct_exllama_8bit_kernelEPKjPKiS2_PK6__halfiiibPS5_
		.amdhsa_group_segment_fixed_size 512
		.amdhsa_private_segment_fixed_size 0
		.amdhsa_kernarg_size 56
		.amdhsa_user_sgpr_count 6
		.amdhsa_user_sgpr_private_segment_buffer 1
		.amdhsa_user_sgpr_dispatch_ptr 0
		.amdhsa_user_sgpr_queue_ptr 0
		.amdhsa_user_sgpr_kernarg_segment_ptr 1
		.amdhsa_user_sgpr_dispatch_id 0
		.amdhsa_user_sgpr_flat_scratch_init 0
		.amdhsa_user_sgpr_kernarg_preload_length 0
		.amdhsa_user_sgpr_kernarg_preload_offset 0
		.amdhsa_user_sgpr_private_segment_size 0
		.amdhsa_uses_dynamic_stack 0
		.amdhsa_system_sgpr_private_segment_wavefront_offset 0
		.amdhsa_system_sgpr_workgroup_id_x 1
		.amdhsa_system_sgpr_workgroup_id_y 1
		.amdhsa_system_sgpr_workgroup_id_z 0
		.amdhsa_system_sgpr_workgroup_info 0
		.amdhsa_system_vgpr_workitem_id 0
		.amdhsa_next_free_vgpr 55
		.amdhsa_next_free_sgpr 41
		.amdhsa_accum_offset 56
		.amdhsa_reserve_vcc 1
		.amdhsa_reserve_flat_scratch 0
		.amdhsa_float_round_mode_32 0
		.amdhsa_float_round_mode_16_64 0
		.amdhsa_float_denorm_mode_32 3
		.amdhsa_float_denorm_mode_16_64 3
		.amdhsa_dx10_clamp 1
		.amdhsa_ieee_mode 1
		.amdhsa_fp16_overflow 0
		.amdhsa_tg_split 0
		.amdhsa_exception_fp_ieee_invalid_op 0
		.amdhsa_exception_fp_denorm_src 0
		.amdhsa_exception_fp_ieee_div_zero 0
		.amdhsa_exception_fp_ieee_overflow 0
		.amdhsa_exception_fp_ieee_underflow 0
		.amdhsa_exception_fp_ieee_inexact 0
		.amdhsa_exception_int_div_zero 0
	.end_amdhsa_kernel
	.text
.Lfunc_end0:
	.size	_ZN4vllm4gptq31reconstruct_exllama_8bit_kernelEPKjPKiS2_PK6__halfiiibPS5_, .Lfunc_end0-_ZN4vllm4gptq31reconstruct_exllama_8bit_kernelEPKjPKiS2_PK6__halfiiibPS5_
                                        ; -- End function
	.section	.AMDGPU.csdata,"",@progbits
; Kernel info:
; codeLenInByte = 2692
; NumSgprs: 45
; NumVgprs: 55
; NumAgprs: 0
; TotalNumVgprs: 55
; ScratchSize: 0
; MemoryBound: 0
; FloatMode: 240
; IeeeMode: 1
; LDSByteSize: 512 bytes/workgroup (compile time only)
; SGPRBlocks: 5
; VGPRBlocks: 6
; NumSGPRsForWavesPerEU: 45
; NumVGPRsForWavesPerEU: 55
; AccumOffset: 56
; Occupancy: 8
; WaveLimiterHint : 0
; COMPUTE_PGM_RSRC2:SCRATCH_EN: 0
; COMPUTE_PGM_RSRC2:USER_SGPR: 6
; COMPUTE_PGM_RSRC2:TRAP_HANDLER: 0
; COMPUTE_PGM_RSRC2:TGID_X_EN: 1
; COMPUTE_PGM_RSRC2:TGID_Y_EN: 1
; COMPUTE_PGM_RSRC2:TGID_Z_EN: 0
; COMPUTE_PGM_RSRC2:TIDIG_COMP_CNT: 0
; COMPUTE_PGM_RSRC3_GFX90A:ACCUM_OFFSET: 13
; COMPUTE_PGM_RSRC3_GFX90A:TG_SPLIT: 0
	.text
	.protected	_ZN4vllm4gptq31reconstruct_exllama_4bit_kernelEPKjPKiS2_PK6__halfiiibPS5_ ; -- Begin function _ZN4vllm4gptq31reconstruct_exllama_4bit_kernelEPKjPKiS2_PK6__halfiiibPS5_
	.globl	_ZN4vllm4gptq31reconstruct_exllama_4bit_kernelEPKjPKiS2_PK6__halfiiibPS5_
	.p2align	8
	.type	_ZN4vllm4gptq31reconstruct_exllama_4bit_kernelEPKjPKiS2_PK6__halfiiibPS5_,@function
_ZN4vllm4gptq31reconstruct_exllama_4bit_kernelEPKjPKiS2_PK6__halfiiibPS5_: ; @_ZN4vllm4gptq31reconstruct_exllama_4bit_kernelEPKjPKiS2_PK6__halfiiibPS5_
; %bb.0:
	s_load_dwordx2 s[0:1], s[4:5], 0x8
	s_load_dwordx4 s[8:11], s[4:5], 0x20
	s_lshl_b32 s16, s7, 7
	s_waitcnt lgkmcnt(0)
	s_cmp_lg_u64 s[0:1], 0
	s_cselect_b64 s[2:3], -1, 0
	s_cmp_eq_u64 s[0:1], 0
	s_cbranch_scc1 .LBB1_4
; %bb.1:
	v_add_u32_e32 v2, s16, v0
	v_cmp_gt_u32_e32 vcc, s8, v2
	s_and_saveexec_b64 s[12:13], vcc
	s_cbranch_execz .LBB1_3
; %bb.2:
	v_mov_b32_e32 v3, 0
	v_lshlrev_b64 v[2:3], 2, v[2:3]
	v_mov_b32_e32 v1, s1
	v_add_co_u32_e32 v2, vcc, s0, v2
	v_addc_co_u32_e32 v3, vcc, v1, v3, vcc
	global_load_dword v1, v[2:3], off
	v_lshlrev_b32_e32 v2, 2, v0
	s_waitcnt vmcnt(0)
	ds_write_b32 v2, v1
.LBB1_3:
	s_or_b64 exec, exec, s[12:13]
.LBB1_4:
	s_lshl_b32 s17, s6, 9
	v_lshlrev_b32_e32 v24, 2, v0
	v_add_u32_e32 v2, s17, v24
	v_cmp_gt_i32_e32 vcc, s9, v2
	s_and_saveexec_b64 s[0:1], vcc
	s_cbranch_execz .LBB1_16
; %bb.5:
	s_abs_i32 s0, s10
	v_cvt_f32_u32_e32 v1, s0
	s_xor_b32 s6, s8, s10
	s_sub_i32 s10, 0, s0
	s_abs_i32 s7, s8
	v_rcp_iflag_f32_e32 v1, v1
	s_add_i32 s1, s16, 0x80
	s_ashr_i32 s6, s6, 31
	v_cvt_f64_i32_e32 v[4:5], s8
	v_mul_f32_e32 v1, 0x4f7ffffe, v1
	v_cvt_u32_f32_e32 v1, v1
	v_cvt_f64_u32_e32 v[6:7], s1
	v_min_f64 v[4:5], v[6:7], v[4:5]
	v_cvt_i32_f64_e32 v25, v[4:5]
	v_readfirstlane_b32 s12, v1
	s_mul_i32 s10, s10, s12
	s_mul_hi_u32 s10, s12, s10
	s_add_i32 s12, s12, s10
	s_mul_hi_u32 s10, s7, s12
	s_mul_i32 s12, s10, s0
	s_sub_i32 s7, s7, s12
	s_add_i32 s13, s10, 1
	s_sub_i32 s12, s7, s0
	s_cmp_ge_u32 s7, s0
	s_cselect_b32 s10, s13, s10
	s_cselect_b32 s7, s12, s7
	s_add_i32 s12, s10, 1
	s_cmp_ge_u32 s7, s0
	s_cselect_b32 s0, s12, s10
	s_xor_b32 s0, s0, s6
	s_sub_i32 s10, s0, s6
	v_cvt_f32_u32_e32 v1, s10
	v_cmp_ge_i32_e32 vcc, s16, v25
	s_mov_b32 s8, 0
	s_and_b64 vcc, exec, vcc
	v_rcp_iflag_f32_e32 v1, v1
	s_waitcnt lgkmcnt(0)
	s_barrier
	v_mul_f32_e32 v1, 0x4f7ffffe, v1
	v_cvt_u32_f32_e32 v1, v1
	v_readfirstlane_b32 s0, v1
	s_cbranch_vccnz .LBB1_16
; %bb.6:
	s_sub_i32 s1, 0, s10
	s_mul_i32 s1, s1, s0
	s_mul_hi_u32 s1, s0, s1
	s_add_i32 s0, s0, s1
	s_mul_hi_u32 s0, s16, s0
	s_mul_i32 s1, s0, s10
	s_sub_i32 s1, s16, s1
	s_add_i32 s6, s0, 1
	s_sub_i32 s7, s1, s10
	s_cmp_ge_u32 s1, s10
	s_cselect_b32 s0, s6, s0
	s_cselect_b32 s1, s7, s1
	s_add_i32 s6, s0, 1
	s_cmp_ge_u32 s1, s10
	s_cselect_b32 s18, s6, s0
	s_mul_i32 s0, s18, s9
	s_load_dwordx4 s[12:15], s[4:5], 0x10
	s_ashr_i32 s1, s0, 31
	v_ashrrev_i32_e32 v3, 31, v2
	s_lshr_b32 s1, s1, 29
	v_lshrrev_b32_e32 v1, 29, v3
	s_add_i32 s1, s0, s1
	v_add_u32_e32 v1, v2, v1
	v_add_u32_e32 v6, s0, v2
	s_ashr_i32 s1, s1, 3
	v_ashrrev_i32_e32 v26, 3, v1
	v_ashrrev_i32_e32 v7, 31, v6
	v_add_u32_e32 v4, s1, v26
	v_lshlrev_b64 v[6:7], 1, v[6:7]
	v_ashrrev_i32_e32 v5, 31, v4
	s_waitcnt lgkmcnt(0)
	v_mov_b32_e32 v8, s15
	v_add_co_u32_e32 v6, vcc, s14, v6
	v_lshlrev_b64 v[4:5], 2, v[4:5]
	v_addc_co_u32_e32 v7, vcc, v8, v7, vcc
	v_mov_b32_e32 v1, s13
	v_add_co_u32_e32 v4, vcc, s12, v4
	v_addc_co_u32_e32 v5, vcc, v1, v5, vcc
	global_load_dword v8, v[4:5], off
	s_bitcmp1_b32 s11, 0
	global_load_dwordx2 v[6:7], v[6:7], off
	s_cselect_b64 s[22:23], -1, 0
	s_load_dwordx2 s[0:1], s[4:5], 0x0
	s_load_dwordx2 s[6:7], s[4:5], 0x30
	s_lshr_b32 s5, s16, 3
	s_xor_b64 s[22:23], s[22:23], -1
	v_cndmask_b32_e64 v28, 0, 1, s[22:23]
	s_mul_i32 s22, s5, s9
	s_ashr_i32 s23, s22, 31
	s_lshl_b64 s[22:23], s[22:23], 2
	s_waitcnt lgkmcnt(0)
	s_add_u32 s0, s0, s22
	v_lshlrev_b32_e32 v9, 4, v0
	v_lshlrev_b64 v[4:5], 2, v[2:3]
	s_addc_u32 s1, s1, s23
	s_mov_b32 s19, 0x7060302
	s_mov_b32 s20, 0x5040100
	v_and_b32_e32 v27, 16, v9
	v_mov_b32_e32 v3, s1
	v_add_co_u32_e32 v0, vcc, s0, v4
	v_addc_co_u32_e32 v3, vcc, v3, v5, vcc
	s_mov_b32 s4, s9
	s_ashr_i32 s5, s9, 31
	s_mov_b32 s21, s9
	v_mov_b32_e32 v1, v2
	s_add_i32 s11, s10, s16
	s_add_i32 s22, s16, 7
	;; [unrolled: 1-line block ×3, first 2 shown]
	s_lshl_b32 s24, s9, 3
	s_add_i32 s25, s16, 5
	s_lshl_b64 s[4:5], s[4:5], 2
	s_add_i32 s26, s16, 4
	s_add_i32 s27, s16, 1
	;; [unrolled: 1-line block ×4, first 2 shown]
	s_movk_i32 s30, 0x2c00
	s_mov_b32 s31, s16
	s_waitcnt vmcnt(1)
	v_lshrrev_b32_e32 v4, v9, v8
	v_bfe_u32 v5, v8, v27, 4
	s_waitcnt vmcnt(0)
	v_perm_b32 v29, v7, v7, s19
	v_perm_b32 v30, v7, v7, s20
	;; [unrolled: 1-line block ×4, first 2 shown]
	v_bfe_u32 v6, v4, 12, 4
	v_bfe_u32 v7, v4, 8, 4
	;; [unrolled: 1-line block ×3, first 2 shown]
	v_add_u32_e32 v5, v5, v28
	v_add_u32_e32 v6, v6, v28
	;; [unrolled: 1-line block ×4, first 2 shown]
	v_cvt_f32_ubyte0_e32 v8, v5
	v_or_b32_e32 v5, 0xffffe400, v5
	v_cvt_f32_ubyte0_e32 v9, v6
	v_or_b32_e32 v6, 0xffffe400, v6
	;; [unrolled: 2-line block ×3, first 2 shown]
	v_cvt_f32_ubyte0_e32 v11, v4
	v_cvt_f16_f32_e32 v8, v8
	v_perm_b32 v33, v5, v5, s20
	v_cvt_f16_f32_e32 v5, v9
	v_perm_b32 v36, v6, v6, s20
	;; [unrolled: 2-line block ×3, first 2 shown]
	v_cvt_f16_f32_e32 v7, v11
	v_or_b32_e32 v4, 0xffffe400, v4
	v_perm_b32 v35, v4, v4, s20
	v_sub_f16_e32 v4, 0xd400, v8
	v_sub_f16_e32 v5, 0xd400, v5
	;; [unrolled: 1-line block ×4, first 2 shown]
	v_pack_b32_f16 v37, v4, v4
	v_pack_b32_f16 v38, v5, v5
	;; [unrolled: 1-line block ×4, first 2 shown]
	s_branch .LBB1_8
.LBB1_7:                                ;   in Loop: Header=BB1_8 Depth=1
	s_add_i32 s31, s31, 32
	v_cmp_ge_i32_e32 vcc, s31, v25
	v_add_co_u32_e64 v0, s[0:1], -12, v4
	v_addc_co_u32_e64 v3, s[0:1], -1, v5, s[0:1]
	s_cbranch_vccnz .LBB1_16
.LBB1_8:                                ; =>This Loop Header: Depth=1
                                        ;     Child Loop BB1_12 Depth 2
	s_cmp_lg_u32 s31, s11
	s_cbranch_scc1 .LBB1_10
; %bb.9:                                ;   in Loop: Header=BB1_8 Depth=1
	s_add_i32 s18, s18, 1
	s_mul_i32 s0, s18, s9
	s_ashr_i32 s1, s0, 31
	s_lshr_b32 s1, s1, 29
	s_add_i32 s1, s0, s1
	v_add_u32_e32 v6, s0, v2
	s_ashr_i32 s1, s1, 3
	v_ashrrev_i32_e32 v7, 31, v6
	v_add_u32_e32 v4, s1, v26
	v_lshlrev_b64 v[6:7], 1, v[6:7]
	v_ashrrev_i32_e32 v5, 31, v4
	v_mov_b32_e32 v9, s15
	v_add_co_u32_e32 v6, vcc, s14, v6
	v_lshlrev_b64 v[4:5], 2, v[4:5]
	v_addc_co_u32_e32 v7, vcc, v9, v7, vcc
	v_mov_b32_e32 v8, s13
	v_add_co_u32_e32 v4, vcc, s12, v4
	v_addc_co_u32_e32 v5, vcc, v8, v5, vcc
	global_load_dword v4, v[4:5], off
	s_add_i32 s11, s11, s10
	global_load_dwordx2 v[6:7], v[6:7], off
	s_waitcnt vmcnt(1)
	v_lshrrev_b32_e32 v5, v27, v4
	v_bfe_u32 v4, v4, v27, 4
	s_waitcnt vmcnt(0)
	v_perm_b32 v32, v6, v6, s20
	v_perm_b32 v31, v6, v6, s19
	;; [unrolled: 1-line block ×4, first 2 shown]
	v_bfe_u32 v6, v5, 4, 4
	v_bfe_u32 v7, v5, 8, 4
	;; [unrolled: 1-line block ×3, first 2 shown]
	v_add_u32_e32 v4, v4, v28
	v_or_b32_e32 v8, 0xffffe400, v4
	v_cvt_f32_ubyte0_e32 v4, v4
	v_add_u32_e32 v6, v6, v28
	v_add_u32_e32 v7, v7, v28
	;; [unrolled: 1-line block ×3, first 2 shown]
	v_cvt_f16_f32_e32 v4, v4
	v_perm_b32 v33, v8, v8, s20
	v_or_b32_e32 v8, 0xffffe400, v6
	v_cvt_f32_ubyte0_e32 v6, v6
	v_or_b32_e32 v9, 0xffffe400, v7
	v_cvt_f32_ubyte0_e32 v7, v7
	;; [unrolled: 2-line block ×3, first 2 shown]
	v_cvt_f16_f32_e32 v6, v6
	v_cvt_f16_f32_e32 v7, v7
	;; [unrolled: 1-line block ×3, first 2 shown]
	v_sub_f16_e32 v4, 0xd400, v4
	v_pack_b32_f16 v37, v4, v4
	v_sub_f16_e32 v4, 0xd400, v6
	v_sub_f16_e32 v6, 0xd400, v7
	;; [unrolled: 1-line block ×3, first 2 shown]
	v_perm_b32 v35, v8, v8, s20
	v_perm_b32 v34, v9, v9, s20
	v_perm_b32 v36, v10, v10, s20
	v_pack_b32_f16 v40, v4, v4
	v_pack_b32_f16 v39, v6, v6
	;; [unrolled: 1-line block ×3, first 2 shown]
.LBB1_10:                               ;   in Loop: Header=BB1_8 Depth=1
	s_add_i32 s0, s23, s8
	s_mul_i32 s0, s9, s0
	s_add_i32 s33, s17, s0
	s_add_i32 s0, s25, s8
	s_mul_i32 s0, s9, s0
	s_add_i32 s34, s17, s0
	;; [unrolled: 3-line block ×6, first 2 shown]
	s_add_i32 s0, s16, s8
	v_add_co_u32_e32 v4, vcc, 12, v0
	s_mul_i32 s0, s9, s0
	v_addc_co_u32_e32 v5, vcc, 0, v3, vcc
	s_add_i32 s39, s17, s0
	s_lshl_b32 s40, s8, 2
	s_mov_b32 s41, 0
	s_branch .LBB1_12
.LBB1_11:                               ;   in Loop: Header=BB1_12 Depth=2
	v_mul_lo_u32 v0, v21, s9
	v_add_u32_e32 v6, v0, v2
	v_ashrrev_i32_e32 v7, 31, v6
	v_lshlrev_b64 v[6:7], 1, v[6:7]
	v_mov_b32_e32 v0, s7
	v_add_co_u32_e32 v6, vcc, s6, v6
	v_addc_co_u32_e32 v7, vcc, v0, v7, vcc
	s_add_i32 s8, s8, 8
	v_mov_b32_e32 v0, s5
	s_add_i32 s41, s41, 32
	s_add_i32 s33, s33, s24
	;; [unrolled: 1-line block ×8, first 2 shown]
	v_add_co_u32_e32 v4, vcc, s4, v4
	s_cmpk_eq_i32 s41, 0x80
	v_addc_co_u32_e32 v5, vcc, v5, v0, vcc
	global_store_dwordx2 v[6:7], v[22:23], off
	s_cbranch_scc1 .LBB1_7
.LBB1_12:                               ;   Parent Loop BB1_8 Depth=1
                                        ; =>  This Inner Loop Header: Depth=2
	global_load_dwordx4 v[6:9], v[4:5], off offset:-12
	s_andn2_b64 vcc, exec, s[2:3]
	s_waitcnt vmcnt(0)
	v_and_b32_e32 v0, 0xf000f, v6
	v_and_b32_e32 v3, 0xf000f0, v6
	v_lshrrev_b32_e32 v6, 8, v6
	v_and_b32_e32 v10, 0xf000f, v7
	v_and_b32_e32 v11, 0xf000f0, v7
	v_lshrrev_b32_e32 v7, 8, v7
	v_and_b32_e32 v12, 0xf000f, v8
	v_and_b32_e32 v13, 0xf000f0, v8
	v_lshrrev_b32_e32 v8, 8, v8
	v_and_b32_e32 v14, 0xf000f, v9
	v_and_b32_e32 v15, 0xf000f0, v9
	v_lshrrev_b32_e32 v9, 8, v9
	v_and_b32_e32 v16, 0xf000f, v6
	v_and_b32_e32 v6, 0xf000f0, v6
	;; [unrolled: 1-line block ×8, first 2 shown]
	v_or_b32_e32 v0, 0x64006400, v0
	v_or_b32_e32 v3, 0x64006400, v3
	;; [unrolled: 1-line block ×16, first 2 shown]
	v_pk_add_f16 v0, v33, v0
	v_pk_fma_f16 v3, v3, s30, v37 op_sel_hi:[1,0,1]
	v_pk_add_f16 v10, v35, v10
	v_pk_fma_f16 v11, v11, s30, v40 op_sel_hi:[1,0,1]
	;; [unrolled: 2-line block ×8, first 2 shown]
	v_pk_mul_f16 v0, v32, v0
	v_pk_mul_f16 v10, v31, v10
	;; [unrolled: 1-line block ×16, first 2 shown]
	v_perm_b32 v16, v10, v0, s19
	v_perm_b32 v17, v14, v12, s19
	v_perm_b32 v18, v10, v0, s20
	v_perm_b32 v19, v14, v12, s20
	v_pack_b32_f16 v14, v3, v11
	v_pack_b32_f16 v15, v13, v43
	v_perm_b32 v12, v11, v3, s19
	v_perm_b32 v13, v43, v13, s19
	v_pack_b32_f16 v10, v20, v21
	v_pack_b32_f16 v11, v44, v45
	v_perm_b32 v8, v21, v20, s19
	v_perm_b32 v9, v45, v44, s19
	v_pack_b32_f16 v6, v22, v23
	v_pack_b32_f16 v7, v41, v42
	v_perm_b32 v0, v23, v22, s19
	v_perm_b32 v3, v42, v41, s19
	s_cbranch_vccnz .LBB1_14
; %bb.13:                               ;   in Loop: Header=BB1_12 Depth=2
	s_add_i32 s0, s40, s41
	v_mov_b32_e32 v20, s0
	ds_read2_b32 v[44:45], v20 offset1:1
	ds_read2_b32 v[46:47], v20 offset0:2 offset1:3
	ds_read2_b32 v[48:49], v20 offset0:4 offset1:5
	;; [unrolled: 1-line block ×3, first 2 shown]
	v_perm_b32 v22, v23, v22, s19
	s_waitcnt lgkmcnt(3)
	v_mul_lo_u32 v43, v44, s21
	v_add_u32_e32 v50, v43, v2
	v_mul_lo_u32 v44, v45, s9
	v_ashrrev_i32_e32 v51, 31, v50
	v_add_u32_e32 v44, v44, v1
	v_lshlrev_b64 v[50:51], 1, v[50:51]
	v_mov_b32_e32 v43, s7
	v_add_co_u32_e32 v50, vcc, s6, v50
	v_ashrrev_i32_e32 v45, 31, v44
	v_addc_co_u32_e32 v51, vcc, v43, v51, vcc
	v_lshlrev_b64 v[44:45], 1, v[44:45]
	v_add_co_u32_e32 v44, vcc, s6, v44
	v_addc_co_u32_e32 v45, vcc, v43, v45, vcc
	global_store_dwordx2 v[50:51], v[18:19], off
	global_store_dwordx2 v[44:45], v[16:17], off
	s_waitcnt lgkmcnt(2)
	v_mul_lo_u32 v45, v46, s21
	v_add_u32_e32 v46, v45, v2
	v_mul_lo_u32 v44, v47, s9
	v_ashrrev_i32_e32 v47, 31, v46
	v_add_u32_e32 v44, v44, v1
	v_lshlrev_b64 v[46:47], 1, v[46:47]
	v_add_co_u32_e32 v46, vcc, s6, v46
	v_ashrrev_i32_e32 v45, 31, v44
	v_addc_co_u32_e32 v47, vcc, v43, v47, vcc
	v_lshlrev_b64 v[44:45], 1, v[44:45]
	v_add_co_u32_e32 v44, vcc, s6, v44
	v_addc_co_u32_e32 v45, vcc, v43, v45, vcc
	global_store_dwordx2 v[46:47], v[14:15], off
	global_store_dwordx2 v[44:45], v[12:13], off
	s_waitcnt lgkmcnt(1)
	v_mul_lo_u32 v45, v48, s21
	v_add_u32_e32 v46, v45, v2
	v_mul_lo_u32 v44, v49, s9
	v_ashrrev_i32_e32 v47, 31, v46
	v_add_u32_e32 v44, v44, v1
	v_lshlrev_b64 v[46:47], 1, v[46:47]
	v_add_co_u32_e32 v46, vcc, s6, v46
	v_ashrrev_i32_e32 v45, 31, v44
	v_addc_co_u32_e32 v47, vcc, v43, v47, vcc
	v_lshlrev_b64 v[44:45], 1, v[44:45]
	v_add_co_u32_e32 v44, vcc, s6, v44
	v_addc_co_u32_e32 v45, vcc, v43, v45, vcc
	s_waitcnt lgkmcnt(0)
	v_mul_lo_u32 v20, v20, s9
	global_store_dwordx2 v[46:47], v[10:11], off
	global_store_dwordx2 v[44:45], v[8:9], off
	v_add_u32_e32 v44, v20, v2
	v_ashrrev_i32_e32 v45, 31, v44
	v_lshlrev_b64 v[44:45], 1, v[44:45]
	v_add_co_u32_e32 v44, vcc, s6, v44
	v_addc_co_u32_e32 v45, vcc, v43, v45, vcc
	v_perm_b32 v23, v42, v41, s19
	global_store_dwordx2 v[44:45], v[6:7], off
	s_cbranch_execnz .LBB1_11
	s_branch .LBB1_15
.LBB1_14:                               ;   in Loop: Header=BB1_12 Depth=2
                                        ; implicit-def: $vgpr23
                                        ; implicit-def: $vgpr21
.LBB1_15:                               ;   in Loop: Header=BB1_12 Depth=2
	v_add_u32_e32 v20, s39, v24
	v_ashrrev_i32_e32 v21, 31, v20
	v_lshlrev_b64 v[20:21], 1, v[20:21]
	v_mov_b32_e32 v22, s7
	v_add_co_u32_e32 v20, vcc, s6, v20
	v_addc_co_u32_e32 v21, vcc, v22, v21, vcc
	global_store_dwordx2 v[20:21], v[18:19], off
	v_add_u32_e32 v18, s36, v24
	v_ashrrev_i32_e32 v19, 31, v18
	v_lshlrev_b64 v[18:19], 1, v[18:19]
	v_add_co_u32_e32 v18, vcc, s6, v18
	v_addc_co_u32_e32 v19, vcc, v22, v19, vcc
	global_store_dwordx2 v[18:19], v[16:17], off
	v_add_u32_e32 v16, s38, v24
	v_ashrrev_i32_e32 v17, 31, v16
	v_lshlrev_b64 v[16:17], 1, v[16:17]
	;; [unrolled: 6-line block ×6, first 2 shown]
	v_add_co_u32_e32 v8, vcc, s6, v8
	s_add_i32 s0, s22, s8
	v_addc_co_u32_e32 v9, vcc, v22, v9, vcc
	v_mov_b32_e32 v21, s0
	v_mov_b32_e32 v22, v0
	;; [unrolled: 1-line block ×3, first 2 shown]
	global_store_dwordx2 v[8:9], v[6:7], off
	s_branch .LBB1_11
.LBB1_16:
	s_endpgm
	.section	.rodata,"a",@progbits
	.p2align	6, 0x0
	.amdhsa_kernel _ZN4vllm4gptq31reconstruct_exllama_4bit_kernelEPKjPKiS2_PK6__halfiiibPS5_
		.amdhsa_group_segment_fixed_size 512
		.amdhsa_private_segment_fixed_size 0
		.amdhsa_kernarg_size 56
		.amdhsa_user_sgpr_count 6
		.amdhsa_user_sgpr_private_segment_buffer 1
		.amdhsa_user_sgpr_dispatch_ptr 0
		.amdhsa_user_sgpr_queue_ptr 0
		.amdhsa_user_sgpr_kernarg_segment_ptr 1
		.amdhsa_user_sgpr_dispatch_id 0
		.amdhsa_user_sgpr_flat_scratch_init 0
		.amdhsa_user_sgpr_kernarg_preload_length 0
		.amdhsa_user_sgpr_kernarg_preload_offset 0
		.amdhsa_user_sgpr_private_segment_size 0
		.amdhsa_uses_dynamic_stack 0
		.amdhsa_system_sgpr_private_segment_wavefront_offset 0
		.amdhsa_system_sgpr_workgroup_id_x 1
		.amdhsa_system_sgpr_workgroup_id_y 1
		.amdhsa_system_sgpr_workgroup_id_z 0
		.amdhsa_system_sgpr_workgroup_info 0
		.amdhsa_system_vgpr_workitem_id 0
		.amdhsa_next_free_vgpr 52
		.amdhsa_next_free_sgpr 42
		.amdhsa_accum_offset 52
		.amdhsa_reserve_vcc 1
		.amdhsa_reserve_flat_scratch 0
		.amdhsa_float_round_mode_32 0
		.amdhsa_float_round_mode_16_64 0
		.amdhsa_float_denorm_mode_32 3
		.amdhsa_float_denorm_mode_16_64 3
		.amdhsa_dx10_clamp 1
		.amdhsa_ieee_mode 1
		.amdhsa_fp16_overflow 0
		.amdhsa_tg_split 0
		.amdhsa_exception_fp_ieee_invalid_op 0
		.amdhsa_exception_fp_denorm_src 0
		.amdhsa_exception_fp_ieee_div_zero 0
		.amdhsa_exception_fp_ieee_overflow 0
		.amdhsa_exception_fp_ieee_underflow 0
		.amdhsa_exception_fp_ieee_inexact 0
		.amdhsa_exception_int_div_zero 0
	.end_amdhsa_kernel
	.text
.Lfunc_end1:
	.size	_ZN4vllm4gptq31reconstruct_exllama_4bit_kernelEPKjPKiS2_PK6__halfiiibPS5_, .Lfunc_end1-_ZN4vllm4gptq31reconstruct_exllama_4bit_kernelEPKjPKiS2_PK6__halfiiibPS5_
                                        ; -- End function
	.section	.AMDGPU.csdata,"",@progbits
; Kernel info:
; codeLenInByte = 2808
; NumSgprs: 46
; NumVgprs: 52
; NumAgprs: 0
; TotalNumVgprs: 52
; ScratchSize: 0
; MemoryBound: 0
; FloatMode: 240
; IeeeMode: 1
; LDSByteSize: 512 bytes/workgroup (compile time only)
; SGPRBlocks: 5
; VGPRBlocks: 6
; NumSGPRsForWavesPerEU: 46
; NumVGPRsForWavesPerEU: 52
; AccumOffset: 52
; Occupancy: 8
; WaveLimiterHint : 0
; COMPUTE_PGM_RSRC2:SCRATCH_EN: 0
; COMPUTE_PGM_RSRC2:USER_SGPR: 6
; COMPUTE_PGM_RSRC2:TRAP_HANDLER: 0
; COMPUTE_PGM_RSRC2:TGID_X_EN: 1
; COMPUTE_PGM_RSRC2:TGID_Y_EN: 1
; COMPUTE_PGM_RSRC2:TGID_Z_EN: 0
; COMPUTE_PGM_RSRC2:TIDIG_COMP_CNT: 0
; COMPUTE_PGM_RSRC3_GFX90A:ACCUM_OFFSET: 12
; COMPUTE_PGM_RSRC3_GFX90A:TG_SPLIT: 0
	.text
	.protected	_ZN4vllm4gptq31reconstruct_exllama_3bit_kernelEPKjPKiS2_PK6__halfiiibPS5_ ; -- Begin function _ZN4vllm4gptq31reconstruct_exllama_3bit_kernelEPKjPKiS2_PK6__halfiiibPS5_
	.globl	_ZN4vllm4gptq31reconstruct_exllama_3bit_kernelEPKjPKiS2_PK6__halfiiibPS5_
	.p2align	8
	.type	_ZN4vllm4gptq31reconstruct_exllama_3bit_kernelEPKjPKiS2_PK6__halfiiibPS5_,@function
_ZN4vllm4gptq31reconstruct_exllama_3bit_kernelEPKjPKiS2_PK6__halfiiibPS5_: ; @_ZN4vllm4gptq31reconstruct_exllama_3bit_kernelEPKjPKiS2_PK6__halfiiibPS5_
; %bb.0:
	s_load_dwordx2 s[0:1], s[4:5], 0x8
	s_load_dwordx4 s[12:15], s[4:5], 0x20
	s_lshl_b32 s28, s7, 7
	s_waitcnt lgkmcnt(0)
	s_cmp_lg_u64 s[0:1], 0
	s_cselect_b64 s[10:11], -1, 0
	s_cmp_eq_u64 s[0:1], 0
	s_cbranch_scc1 .LBB2_4
; %bb.1:
	v_add_u32_e32 v2, s28, v0
	v_cmp_gt_u32_e32 vcc, s12, v2
	s_and_saveexec_b64 s[2:3], vcc
	s_cbranch_execz .LBB2_3
; %bb.2:
	v_mov_b32_e32 v3, 0
	v_lshlrev_b64 v[2:3], 2, v[2:3]
	v_mov_b32_e32 v1, s1
	v_add_co_u32_e32 v2, vcc, s0, v2
	v_addc_co_u32_e32 v3, vcc, v1, v3, vcc
	global_load_dword v1, v[2:3], off
	v_lshlrev_b32_e32 v2, 2, v0
	s_waitcnt vmcnt(0)
	ds_write_b32 v2, v1
.LBB2_3:
	s_or_b64 exec, exec, s[2:3]
.LBB2_4:
	s_lshl_b32 s6, s6, 9
	v_lshlrev_b32_e32 v54, 2, v0
	v_add_u32_e32 v12, s6, v54
	v_cmp_gt_i32_e32 vcc, s13, v12
	s_and_saveexec_b64 s[0:1], vcc
	s_cbranch_execz .LBB2_46
; %bb.5:
	s_abs_i32 s0, s14
	v_cvt_f32_u32_e32 v0, s0
	s_sub_i32 s3, 0, s0
	s_abs_i32 s2, s12
	s_xor_b32 s1, s12, s14
	v_rcp_iflag_f32_e32 v0, v0
	s_ashr_i32 s1, s1, 31
	s_load_dwordx2 s[16:17], s[4:5], 0x10
	v_and_b32_e32 v2, 28, v54
	v_mul_f32_e32 v0, 0x4f7ffffe, v0
	v_cvt_u32_f32_e32 v0, v0
                                        ; implicit-def: $vgpr3
                                        ; implicit-def: $vgpr4
	v_readfirstlane_b32 s8, v0
	s_mul_i32 s3, s3, s8
	s_mul_hi_u32 s3, s8, s3
	s_add_i32 s8, s8, s3
	s_mul_hi_u32 s3, s2, s8
	s_mul_i32 s8, s3, s0
	s_sub_i32 s2, s2, s8
	s_add_i32 s9, s3, 1
	s_sub_i32 s8, s2, s0
	s_cmp_ge_u32 s2, s0
	s_cselect_b32 s3, s9, s3
	s_cselect_b32 s2, s8, s2
	s_add_i32 s8, s3, 1
	s_cmp_ge_u32 s2, s0
	s_cselect_b32 s0, s8, s3
	s_xor_b32 s0, s0, s1
	s_sub_i32 s29, s0, s1
	v_cvt_f32_u32_e32 v0, s29
	s_sub_i32 s0, 0, s29
	v_rcp_iflag_f32_e32 v0, v0
	v_mul_f32_e32 v0, 0x4f7ffffe, v0
	v_cvt_u32_f32_e32 v0, v0
	v_readfirstlane_b32 s1, v0
	s_mul_i32 s0, s0, s1
	s_mul_hi_u32 s0, s1, s0
	s_add_i32 s1, s1, s0
	s_mul_hi_u32 s0, s28, s1
	s_mul_i32 s1, s0, s29
	s_sub_i32 s1, s28, s1
	s_add_i32 s2, s0, 1
	s_sub_i32 s3, s1, s29
	s_cmp_ge_u32 s1, s29
	s_cselect_b32 s0, s2, s0
	s_cselect_b32 s1, s3, s1
	s_add_i32 s2, s0, 1
	s_cmp_ge_u32 s1, s29
	s_cselect_b32 s30, s2, s0
	v_cmp_lt_u32_e64 s[0:1], 4, v2
	s_and_saveexec_b64 s[2:3], s[0:1]
	s_xor_b64 s[2:3], exec, s[2:3]
	s_cbranch_execz .LBB2_19
; %bb.6:
	v_cmp_ne_u32_e32 vcc, 8, v2
                                        ; implicit-def: $vgpr3
                                        ; implicit-def: $vgpr4
	s_and_saveexec_b64 s[8:9], vcc
	s_xor_b64 s[8:9], exec, s[8:9]
	s_cbranch_execz .LBB2_16
; %bb.7:
	v_cmp_lt_u32_e32 vcc, 16, v2
                                        ; implicit-def: $vgpr3
                                        ; implicit-def: $vgpr4
	s_and_saveexec_b64 s[18:19], vcc
	s_xor_b64 s[18:19], exec, s[18:19]
	s_cbranch_execz .LBB2_13
; %bb.8:
	s_mul_i32 s14, s30, s13
	v_lshl_add_u32 v0, v12, 1, v12
	s_ashr_i32 s20, s14, 31
	v_ashrrev_i32_e32 v1, 31, v0
	s_lshr_b32 s20, s20, 27
	v_lshrrev_b32_e32 v1, 27, v1
	s_add_i32 s20, s14, s20
	v_add_u32_e32 v0, v0, v1
	s_ashr_i32 s20, s20, 5
	v_ashrrev_i32_e32 v0, 5, v0
	v_mad_u64_u32 v[0:1], s[20:21], s20, 3, v[0:1]
	v_ashrrev_i32_e32 v1, 31, v0
	v_lshlrev_b64 v[0:1], 2, v[0:1]
	s_waitcnt lgkmcnt(0)
	v_mov_b32_e32 v3, s17
	v_add_co_u32_e32 v0, vcc, s16, v0
	v_addc_co_u32_e32 v1, vcc, v3, v1, vcc
	global_load_dword v5, v[0:1], off
	v_cmp_ne_u32_e32 vcc, 20, v2
                                        ; implicit-def: $vgpr3
	s_and_saveexec_b64 s[20:21], vcc
	s_xor_b64 s[20:21], exec, s[20:21]
	s_cbranch_execz .LBB2_10
; %bb.9:
	v_not_b32_e32 v0, 63
	v_mad_u32_u24 v0, v2, 3, v0
	s_waitcnt vmcnt(0)
	v_lshrrev_b32_e32 v3, v0, v5
                                        ; implicit-def: $vgpr0_vgpr1
                                        ; implicit-def: $vgpr5
.LBB2_10:
	s_or_saveexec_b64 s[20:21], s[20:21]
	v_mov_b32_e32 v4, s14
	s_xor_b64 exec, exec, s[20:21]
	s_cbranch_execz .LBB2_12
; %bb.11:
	global_load_dword v0, v[0:1], off offset:4
	v_mov_b32_e32 v4, s14
	s_waitcnt vmcnt(0)
	v_alignbit_b32 v0, v0, v5, 28
	v_and_b32_e32 v3, 0xfff, v0
.LBB2_12:
	s_or_b64 exec, exec, s[20:21]
.LBB2_13:
	s_andn2_saveexec_b64 s[18:19], s[18:19]
	s_cbranch_execz .LBB2_15
; %bb.14:
	s_mul_i32 s14, s30, s13
	v_lshl_add_u32 v0, v12, 1, v12
	s_ashr_i32 s20, s14, 31
	v_ashrrev_i32_e32 v1, 31, v0
	s_lshr_b32 s20, s20, 27
	v_lshrrev_b32_e32 v1, 27, v1
	s_add_i32 s20, s14, s20
	v_add_u32_e32 v0, v0, v1
	s_ashr_i32 s20, s20, 5
	v_ashrrev_i32_e32 v0, 5, v0
	v_mad_u64_u32 v[0:1], s[20:21], s20, 3, v[0:1]
	v_ashrrev_i32_e32 v1, 31, v0
	v_lshlrev_b64 v[0:1], 2, v[0:1]
	s_waitcnt lgkmcnt(0)
	v_mov_b32_e32 v3, s17
	v_add_co_u32_e32 v0, vcc, s16, v0
	v_addc_co_u32_e32 v1, vcc, v3, v1, vcc
	global_load_dword v0, v[0:1], off
	v_not_b32_e32 v1, 31
	v_mad_u32_u24 v1, v2, 3, v1
	v_mov_b32_e32 v4, s14
	s_waitcnt vmcnt(0)
	v_lshrrev_b32_e32 v3, v1, v0
.LBB2_15:
	s_or_b64 exec, exec, s[18:19]
.LBB2_16:
	s_andn2_saveexec_b64 s[8:9], s[8:9]
	s_cbranch_execz .LBB2_18
; %bb.17:
	s_mul_i32 s14, s30, s13
	v_lshl_add_u32 v0, v12, 1, v12
	s_ashr_i32 s18, s14, 31
	v_ashrrev_i32_e32 v1, 31, v0
	s_lshr_b32 s18, s18, 27
	v_lshrrev_b32_e32 v1, 27, v1
	s_add_i32 s18, s14, s18
	v_add_u32_e32 v0, v0, v1
	s_ashr_i32 s18, s18, 5
	v_ashrrev_i32_e32 v0, 5, v0
	v_mad_u64_u32 v[0:1], s[18:19], s18, 3, v[0:1]
	v_ashrrev_i32_e32 v1, 31, v0
	v_lshlrev_b64 v[0:1], 2, v[0:1]
	s_waitcnt lgkmcnt(0)
	v_mov_b32_e32 v3, s17
	v_add_co_u32_e32 v0, vcc, s16, v0
	v_addc_co_u32_e32 v1, vcc, v3, v1, vcc
	global_load_dwordx2 v[0:1], v[0:1], off
	s_mov_b32 s18, 0x2010007
	v_mov_b32_e32 v4, s14
	s_waitcnt vmcnt(0)
	v_perm_b32 v0, v0, v1, s18
	v_and_b32_e32 v3, 0xfff, v0
.LBB2_18:
	s_or_b64 exec, exec, s[8:9]
.LBB2_19:
	s_or_saveexec_b64 s[2:3], s[2:3]
	v_lshl_add_u32 v0, v12, 1, v12
	v_ashrrev_i32_e32 v1, 31, v0
	v_mul_u32_u24_e32 v55, 3, v2
	s_xor_b64 exec, exec, s[2:3]
	s_cbranch_execz .LBB2_21
; %bb.20:
	s_mul_i32 s14, s30, s13
	s_ashr_i32 s8, s14, 31
	s_lshr_b32 s8, s8, 27
	v_lshrrev_b32_e32 v3, 27, v1
	s_add_i32 s8, s14, s8
	v_add_u32_e32 v3, v0, v3
	s_ashr_i32 s8, s8, 5
	v_ashrrev_i32_e32 v4, 5, v3
	s_waitcnt vmcnt(0)
	v_mad_u64_u32 v[4:5], s[8:9], s8, 3, v[4:5]
	v_ashrrev_i32_e32 v5, 31, v4
	v_lshlrev_b64 v[4:5], 2, v[4:5]
	s_waitcnt lgkmcnt(0)
	v_mov_b32_e32 v3, s17
	v_add_co_u32_e32 v4, vcc, s16, v4
	v_addc_co_u32_e32 v5, vcc, v3, v5, vcc
	global_load_dword v3, v[4:5], off
	v_mov_b32_e32 v4, s14
	s_waitcnt vmcnt(0)
	v_lshrrev_b32_e32 v3, v55, v3
.LBB2_21:
	s_or_b64 exec, exec, s[2:3]
	s_add_i32 s2, s28, 0x80
	v_cvt_f64_u32_e32 v[6:7], s2
	v_cvt_f64_i32_e32 v[8:9], s12
	v_min_f64 v[6:7], v[6:7], v[8:9]
	v_cvt_i32_f64_e32 v56, v[6:7]
	v_cmp_ge_i32_e32 vcc, s28, v56
	s_waitcnt lgkmcnt(0)
	s_barrier
	s_cbranch_vccnz .LBB2_46
; %bb.22:
	s_load_dwordx2 s[18:19], s[4:5], 0x18
	s_load_dwordx2 s[20:21], s[4:5], 0x30
	v_add_u32_e32 v4, v4, v12
	s_waitcnt vmcnt(0)
	v_ashrrev_i32_e32 v5, 31, v4
	v_lshlrev_b64 v[4:5], 1, v[4:5]
	s_waitcnt lgkmcnt(0)
	v_mov_b32_e32 v6, s19
	v_add_co_u32_e32 v4, vcc, s18, v4
	v_addc_co_u32_e32 v5, vcc, v6, v5, vcc
	global_load_dwordx2 v[4:5], v[4:5], off
	s_load_dwordx2 s[22:23], s[4:5], 0x0
	s_lshr_b32 s24, s28, 5
	s_mul_i32 s24, s24, s13
	s_mul_i32 s24, s24, 3
	s_ashr_i32 s25, s24, 31
	s_add_i32 s12, s29, s28
	s_lshl_b64 s[24:25], s[24:25], 2
	s_waitcnt lgkmcnt(0)
	s_add_u32 s22, s22, s24
	v_ashrrev_i32_e32 v13, 31, v12
	v_lshrrev_b32_e32 v1, 27, v1
	s_addc_u32 s23, s23, s25
	v_lshlrev_b64 v[6:7], 2, v[12:13]
	v_add_u32_e32 v0, v0, v1
	s_bitcmp1_b32 s15, 0
	v_ashrrev_i32_e32 v14, 5, v0
	v_mov_b32_e32 v0, s23
	v_add_co_u32_e32 v16, vcc, s22, v6
	s_cselect_b64 s[22:23], -1, 0
	s_add_i32 s24, s28, 30
	s_xor_b64 s[22:23], s[22:23], -1
	s_add_i32 s26, s28, 29
	s_add_i32 s38, s28, 27
	v_cndmask_b32_e64 v58, 0, 1, s[22:23]
	s_mul_i32 s22, s13, s24
	s_mul_i32 s24, s13, s26
	;; [unrolled: 1-line block ×3, first 2 shown]
	s_add_i32 s38, s22, s6
	s_add_i32 s22, s28, 21
	s_mul_i32 s22, s13, s22
	s_add_i32 s48, s22, s6
	s_add_i32 s22, s28, 18
	s_mul_i32 s22, s13, s22
	;; [unrolled: 3-line block ×19, first 2 shown]
	s_add_i32 s25, s28, 28
	s_add_i32 s27, s28, 26
	s_add_i32 s39, s28, 24
	s_add_i32 s40, s28, 25
	s_add_i32 s41, s28, 22
	s_add_i32 s42, s28, 23
	s_add_i32 s43, s28, 20
	s_add_i32 s66, s22, s6
	s_add_i32 s22, s28, 1
	s_mul_i32 s7, s7, s13
	s_mov_b32 s31, 0x7060302
	s_mov_b32 s33, 0x5040100
	v_and_b32_e32 v59, 7, v3
	v_bfe_u32 v60, v3, 3, 3
	v_bfe_u32 v61, v3, 6, 3
	;; [unrolled: 1-line block ×3, first 2 shown]
	v_not_b32_e32 v3, 63
	v_not_b32_e32 v8, 31
	s_mov_b32 s14, s13
	s_ashr_i32 s15, s13, 31
	s_mul_i32 s23, s13, s25
	s_mul_i32 s25, s13, s27
	s_mul_i32 s27, s13, s39
	s_mul_i32 s44, s13, s40
	s_mul_i32 s45, s13, s41
	s_mul_i32 s46, s13, s42
	s_mul_i32 s47, s13, s43
	s_mul_i32 s22, s13, s22
	s_lshl_b32 s7, s7, 7
	v_cmp_ne_u32_e64 s[2:3], 8, v2
	v_cmp_lt_u32_e64 s[4:5], 16, v2
	v_cmp_ne_u32_e64 s[8:9], 20, v2
	s_mov_b32 s34, s13
	v_mov_b32_e32 v15, v12
	s_mul_hi_i32 s35, s13, 12
	s_mul_i32 s36, s13, 12
	v_mad_u32_u24 v13, v2, 3, v3
	v_mad_u32_u24 v57, v2, 3, v8
	v_addc_co_u32_e32 v17, vcc, v0, v7, vcc
	s_lshl_b32 s37, s13, 5
	s_add_i32 s39, s23, s6
	s_add_i32 s40, s24, s6
	;; [unrolled: 1-line block ×9, first 2 shown]
	s_waitcnt vmcnt(0)
	v_perm_b32 v63, v5, v5, s31
	v_perm_b32 v64, v5, v5, s33
	;; [unrolled: 1-line block ×4, first 2 shown]
	s_add_i32 s67, s22, s6
	s_add_i32 s68, s7, s6
	s_lshl_b64 s[6:7], s[14:15], 2
	s_mov_b32 s69, 0
	s_mov_b32 s70, 0x2010007
	;; [unrolled: 1-line block ×4, first 2 shown]
	s_movk_i32 s73, 0x3000
	s_movk_i32 s74, 0x2400
	s_branch .LBB2_24
.LBB2_23:                               ;   in Loop: Header=BB2_24 Depth=1
	v_mul_lo_u32 v2, v3, s13
	v_add_u32_e32 v2, v2, v12
	v_ashrrev_i32_e32 v3, 31, v2
	v_lshlrev_b64 v[2:3], 1, v[2:3]
	v_mov_b32_e32 v4, s21
	v_add_co_u32_e32 v2, vcc, s20, v2
	v_addc_co_u32_e32 v3, vcc, v4, v3, vcc
	global_store_dwordx2 v[2:3], v[0:1], off
	v_mov_b32_e32 v0, s35
	v_add_co_u32_e32 v16, vcc, s36, v16
	s_add_i32 s28, s28, 32
	v_addc_co_u32_e32 v17, vcc, v17, v0, vcc
	v_cmp_lt_i32_e32 vcc, s28, v56
	s_add_i32 s38, s38, s37
	s_add_i32 s39, s39, s37
	;; [unrolled: 1-line block ×31, first 2 shown]
	s_addk_i32 s69, 0x80
	s_cbranch_vccz .LBB2_46
.LBB2_24:                               ; =>This Inner Loop Header: Depth=1
	s_cmp_lg_u32 s28, s12
	s_cbranch_scc1 .LBB2_42
; %bb.25:                               ;   in Loop: Header=BB2_24 Depth=1
	s_add_i32 s30, s30, 1
	s_mul_i32 s75, s30, s13
	s_ashr_i32 s14, s75, 31
	s_lshr_b32 s14, s14, 27
	s_add_i32 s14, s75, s14
	s_ashr_i32 s14, s14, 5
	v_mad_u64_u32 v[0:1], s[14:15], s14, 3, v[14:15]
	v_ashrrev_i32_e32 v1, 31, v0
	v_lshlrev_b64 v[0:1], 2, v[0:1]
	v_mov_b32_e32 v2, s17
	v_add_co_u32_e32 v0, vcc, s16, v0
	v_addc_co_u32_e32 v1, vcc, v2, v1, vcc
	global_load_dword v3, v[0:1], off
                                        ; implicit-def: $vgpr2
	s_and_saveexec_b64 s[14:15], s[0:1]
	s_xor_b64 s[14:15], exec, s[14:15]
	s_cbranch_execz .LBB2_39
; %bb.26:                               ;   in Loop: Header=BB2_24 Depth=1
                                        ; implicit-def: $vgpr2
	s_and_saveexec_b64 s[22:23], s[2:3]
	s_xor_b64 s[22:23], exec, s[22:23]
	s_cbranch_execz .LBB2_36
; %bb.27:                               ;   in Loop: Header=BB2_24 Depth=1
	;; [unrolled: 5-line block ×4, first 2 shown]
	s_waitcnt vmcnt(0)
	v_lshrrev_b32_e32 v2, v13, v3
                                        ; implicit-def: $vgpr0_vgpr1
                                        ; implicit-def: $vgpr3
.LBB2_30:                               ;   in Loop: Header=BB2_24 Depth=1
	s_andn2_saveexec_b64 s[26:27], s[26:27]
	s_cbranch_execz .LBB2_32
; %bb.31:                               ;   in Loop: Header=BB2_24 Depth=1
	global_load_dword v0, v[0:1], off offset:4
	s_waitcnt vmcnt(0)
	v_alignbit_b32 v0, v0, v3, 28
	v_and_b32_e32 v2, 0xfff, v0
.LBB2_32:                               ;   in Loop: Header=BB2_24 Depth=1
	s_or_b64 exec, exec, s[26:27]
                                        ; implicit-def: $vgpr3
.LBB2_33:                               ;   in Loop: Header=BB2_24 Depth=1
	s_andn2_saveexec_b64 s[24:25], s[24:25]
	s_cbranch_execz .LBB2_35
; %bb.34:                               ;   in Loop: Header=BB2_24 Depth=1
	s_waitcnt vmcnt(0)
	v_lshrrev_b32_e32 v2, v57, v3
.LBB2_35:                               ;   in Loop: Header=BB2_24 Depth=1
	s_or_b64 exec, exec, s[24:25]
                                        ; implicit-def: $vgpr0_vgpr1
                                        ; implicit-def: $vgpr3
.LBB2_36:                               ;   in Loop: Header=BB2_24 Depth=1
	s_andn2_saveexec_b64 s[22:23], s[22:23]
	s_cbranch_execz .LBB2_38
; %bb.37:                               ;   in Loop: Header=BB2_24 Depth=1
	global_load_dword v0, v[0:1], off offset:4
	s_waitcnt vmcnt(0)
	v_perm_b32 v0, v3, v0, s70
	v_and_b32_e32 v2, 0xfff, v0
.LBB2_38:                               ;   in Loop: Header=BB2_24 Depth=1
	s_or_b64 exec, exec, s[22:23]
                                        ; implicit-def: $vgpr3
.LBB2_39:                               ;   in Loop: Header=BB2_24 Depth=1
	s_andn2_saveexec_b64 s[14:15], s[14:15]
	s_cbranch_execz .LBB2_41
; %bb.40:                               ;   in Loop: Header=BB2_24 Depth=1
	s_waitcnt vmcnt(0)
	v_lshrrev_b32_e32 v2, v55, v3
.LBB2_41:                               ;   in Loop: Header=BB2_24 Depth=1
	s_or_b64 exec, exec, s[14:15]
	v_add_u32_e32 v0, s75, v12
	v_ashrrev_i32_e32 v1, 31, v0
	v_lshlrev_b64 v[0:1], 1, v[0:1]
	s_waitcnt vmcnt(0)
	v_mov_b32_e32 v3, s19
	v_add_co_u32_e32 v0, vcc, s18, v0
	v_addc_co_u32_e32 v1, vcc, v3, v1, vcc
	global_load_dwordx2 v[0:1], v[0:1], off
	s_add_i32 s12, s12, s29
	v_and_b32_e32 v59, 7, v2
	v_bfe_u32 v60, v2, 3, 3
	v_bfe_u32 v61, v2, 6, 3
	;; [unrolled: 1-line block ×3, first 2 shown]
	s_waitcnt vmcnt(0)
	v_perm_b32 v66, v0, v0, s33
	v_perm_b32 v65, v0, v0, s31
	v_perm_b32 v64, v1, v1, s33
	v_perm_b32 v63, v1, v1, s31
.LBB2_42:                               ;   in Loop: Header=BB2_24 Depth=1
	v_mov_b32_e32 v2, s7
	v_add_co_u32_e32 v0, vcc, s6, v16
	v_addc_co_u32_e32 v1, vcc, v17, v2, vcc
	global_load_dwordx4 v[8:11], v[16:17], off
	global_load_dwordx4 v[4:7], v[0:1], off
	v_add_co_u32_e32 v0, vcc, s6, v0
	v_addc_co_u32_e32 v1, vcc, v1, v2, vcc
	global_load_dwordx4 v[0:3], v[0:1], off
	v_add_u32_e32 v18, v59, v58
	v_add_u32_e32 v19, v60, v58
	;; [unrolled: 1-line block ×4, first 2 shown]
	v_or_b32_e32 v30, 0xffffe400, v18
	v_cvt_f32_i32_e32 v22, v18
	v_or_b32_e32 v42, 0xffffe400, v19
	v_cvt_f32_i32_e32 v19, v19
	v_or_b32_e32 v36, 0xffffe400, v20
	v_cvt_f32_i32_e32 v20, v20
	v_or_b32_e32 v18, 0xffffe400, v21
	v_cvt_f32_i32_e32 v21, v21
	v_cvt_f16_f32_e32 v22, v22
	v_cvt_f16_f32_e32 v19, v19
	;; [unrolled: 1-line block ×4, first 2 shown]
	v_sub_f16_e32 v31, 0xd800, v22
	v_sub_f16_e32 v32, 0xcc00, v22
	;; [unrolled: 1-line block ×8, first 2 shown]
	s_andn2_b64 vcc, exec, s[10:11]
	s_waitcnt vmcnt(2)
	v_and_b32_e32 v21, 0x70007, v8
	v_and_b32_e32 v22, 0x380038, v8
	v_lshrrev_b32_e32 v23, 6, v8
	v_or_b32_e32 v21, 0x64006400, v21
	v_or_b32_e32 v22, 0x64006400, v22
	v_and_b32_e32 v24, 0x70007, v23
	s_waitcnt vmcnt(1)
	v_and_b32_e32 v26, 0x70007, v4
	v_and_b32_e32 v27, 0x380038, v4
	v_lshrrev_b32_e32 v28, 6, v4
	v_lshrrev_b32_e32 v29, 14, v4
	;; [unrolled: 1-line block ×3, first 2 shown]
	v_or_b32_e32 v24, 0x64006400, v24
	v_pk_add_f16 v4, v30, v21 op_sel_hi:[0,1]
	v_pk_fma_f16 v21, v22, s73, v31 op_sel_hi:[1,0,0]
	v_or_b32_e32 v22, 0x64006400, v26
	v_or_b32_e32 v26, 0x64006400, v27
	v_and_b32_e32 v27, 0x70007, v28
	v_and_b32_e32 v29, 0x20002, v29
	s_waitcnt vmcnt(0)
	v_and_b32_e32 v35, 0x70007, v0
	v_and_b32_e32 v37, 0x380038, v0
	v_lshrrev_b32_e32 v38, 6, v0
	v_lshrrev_b32_e32 v0, 13, v0
	v_and_b32_e32 v33, 0x380038, v28
	v_and_b32_e32 v34, 0x1c001c0, v28
	v_pk_add_f16 v28, v30, v24 op_sel_hi:[0,1]
	v_or_b32_e32 v24, 0x64006400, v27
	v_or_b32_e32 v35, 0x64006400, v35
	v_and_b32_e32 v27, 0x70007, v38
	v_and_b32_e32 v0, 0x40004, v0
	v_and_or_b32 v8, v8, s72, v29
	v_or_b32_e32 v45, 0x64006400, v27
	v_or3_b32 v0, v8, v0, s71
	v_pk_add_f16 v8, v30, v35 op_sel_hi:[0,1]
	v_and_b32_e32 v35, 0x70007, v5
	v_pk_add_f16 v69, v30, v45 op_sel_hi:[0,1]
	v_or_b32_e32 v45, 0x64006400, v35
	v_and_b32_e32 v35, 0x380038, v5
	v_or_b32_e32 v37, 0x64006400, v37
	v_or_b32_e32 v46, 0x64006400, v35
	v_lshrrev_b32_e32 v35, 6, v5
	v_pk_fma_f16 v70, v37, s73, v31 op_sel_hi:[1,0,0]
	v_and_b32_e32 v37, 0x70007, v35
	v_or_b32_e32 v47, 0x64006400, v37
	v_and_b32_e32 v37, 0x380038, v35
	v_and_b32_e32 v35, 0x1c001c0, v35
	v_or_b32_e32 v49, 0x64006400, v35
	v_and_b32_e32 v35, 0x70007, v1
	v_and_b32_e32 v25, 0x380038, v23
	;; [unrolled: 1-line block ×5, first 2 shown]
	v_or_b32_e32 v50, 0x64006400, v35
	v_and_b32_e32 v35, 0x380038, v1
	v_or_b32_e32 v23, 0x64006400, v23
	v_or_b32_e32 v34, 0x64006400, v34
	;; [unrolled: 1-line block ×4, first 2 shown]
	v_lshrrev_b32_e32 v35, 6, v1
	v_or_b32_e32 v25, 0x64006400, v25
	v_pk_fma_f16 v23, v23, s74, v32 op_sel_hi:[1,0,0]
	v_or_b32_e32 v33, 0x64006400, v33
	v_pk_add_f16 v29, v30, v22 op_sel_hi:[0,1]
	v_or_b32_e32 v39, 0x64006400, v39
	v_pk_fma_f16 v22, v34, s74, v32 op_sel_hi:[1,0,0]
	v_pk_fma_f16 v67, v38, s74, v32 op_sel_hi:[1,0,0]
	v_lshrrev_b32_e32 v32, 6, v9
	v_or_b32_e32 v48, 0x64006400, v37
	v_lshrrev_b32_e32 v5, 14, v5
	v_and_b32_e32 v37, 0x70007, v35
	v_pk_fma_f16 v25, v25, s73, v31 op_sel_hi:[1,0,0]
	v_pk_fma_f16 v26, v26, s73, v31 op_sel_hi:[1,0,0]
	v_pk_add_f16 v27, v30, v24 op_sel_hi:[0,1]
	v_pk_fma_f16 v24, v33, s73, v31 op_sel_hi:[1,0,0]
	v_pk_fma_f16 v68, v39, s73, v31 op_sel_hi:[1,0,0]
	v_pk_add_f16 v0, v30, v0 op_sel_hi:[0,1]
	v_and_b32_e32 v30, 0x70007, v9
	v_and_b32_e32 v31, 0x380038, v9
	;; [unrolled: 1-line block ×5, first 2 shown]
	v_lshrrev_b32_e32 v9, 15, v9
	v_and_b32_e32 v5, 0x20002, v5
	v_or_b32_e32 v52, 0x64006400, v37
	v_and_b32_e32 v37, 0x380038, v35
	v_and_b32_e32 v35, 0x1c001c0, v35
	v_lshrrev_b32_e32 v1, 13, v1
	v_or_b32_e32 v30, 0x64006400, v30
	v_or_b32_e32 v31, 0x64006400, v31
	;; [unrolled: 1-line block ×4, first 2 shown]
	v_and_b32_e32 v1, 0x40004, v1
	v_and_or_b32 v5, v9, s72, v5
	v_lshrrev_b32_e32 v75, 6, v2
	v_or_b32_e32 v33, 0x64006400, v33
	v_or_b32_e32 v34, 0x64006400, v34
	;; [unrolled: 1-line block ×3, first 2 shown]
	v_or3_b32 v1, v5, v1, s71
	v_pk_add_f16 v5, v42, v30 op_sel_hi:[0,1]
	v_pk_fma_f16 v39, v31, s73, v43 op_sel_hi:[1,0,0]
	v_pk_fma_f16 v35, v32, s74, v44 op_sel_hi:[1,0,0]
	v_pk_add_f16 v32, v42, v47 op_sel_hi:[0,1]
	v_pk_fma_f16 v31, v48, s73, v43 op_sel_hi:[1,0,0]
	v_pk_fma_f16 v30, v49, s74, v44 op_sel_hi:[1,0,0]
	;; [unrolled: 1-line block ×3, first 2 shown]
	v_lshrrev_b32_e32 v44, 6, v10
	v_and_b32_e32 v47, 0x70007, v6
	v_and_b32_e32 v48, 0x380038, v6
	v_lshrrev_b32_e32 v49, 6, v6
	v_lshrrev_b32_e32 v6, 14, v6
	v_and_b32_e32 v76, 0x70007, v75
	v_pk_add_f16 v38, v42, v33 op_sel_hi:[0,1]
	v_pk_fma_f16 v37, v34, s73, v43 op_sel_hi:[1,0,0]
	v_pk_add_f16 v34, v42, v45 op_sel_hi:[0,1]
	v_pk_fma_f16 v33, v46, s73, v43 op_sel_hi:[1,0,0]
	;; [unrolled: 2-line block ×4, first 2 shown]
	v_pk_add_f16 v1, v42, v1 op_sel_hi:[0,1]
	v_and_b32_e32 v42, 0x70007, v10
	v_and_b32_e32 v43, 0x380038, v10
	;; [unrolled: 1-line block ×5, first 2 shown]
	v_lshrrev_b32_e32 v10, 15, v10
	v_and_b32_e32 v50, 0x70007, v49
	v_and_b32_e32 v51, 0x380038, v49
	;; [unrolled: 1-line block ×6, first 2 shown]
	v_or_b32_e32 v77, 0x64006400, v76
	v_and_b32_e32 v76, 0x380038, v75
	v_and_b32_e32 v75, 0x1c001c0, v75
	v_lshrrev_b32_e32 v2, 13, v2
	v_or_b32_e32 v44, 0x64006400, v44
	v_or_b32_e32 v49, 0x64006400, v49
	;; [unrolled: 1-line block ×5, first 2 shown]
	v_and_b32_e32 v2, 0x40004, v2
	v_and_or_b32 v6, v10, s72, v6
	v_or_b32_e32 v42, 0x64006400, v42
	v_or_b32_e32 v43, 0x64006400, v43
	;; [unrolled: 1-line block ×9, first 2 shown]
	v_or3_b32 v2, v6, v2, s71
	v_pk_fma_f16 v44, v44, s74, v41 op_sel_hi:[1,0,0]
	v_pk_fma_f16 v49, v49, s74, v41 op_sel_hi:[1,0,0]
	;; [unrolled: 1-line block ×3, first 2 shown]
	v_pk_add_f16 v75, v36, v77 op_sel_hi:[0,1]
	v_pk_fma_f16 v77, v78, s73, v40 op_sel_hi:[1,0,0]
	v_pk_fma_f16 v87, v79, s74, v41 op_sel_hi:[1,0,0]
	v_lshrrev_b32_e32 v41, 6, v11
	v_and_b32_e32 v53, 0x70007, v7
	v_and_b32_e32 v78, 0x380038, v7
	v_lshrrev_b32_e32 v79, 6, v7
	v_lshrrev_b32_e32 v7, 14, v7
	v_pk_add_f16 v6, v36, v42 op_sel_hi:[0,1]
	v_pk_fma_f16 v10, v43, s73, v40 op_sel_hi:[1,0,0]
	v_pk_add_f16 v42, v36, v45 op_sel_hi:[0,1]
	v_pk_fma_f16 v43, v46, s73, v40 op_sel_hi:[1,0,0]
	;; [unrolled: 2-line block ×4, first 2 shown]
	v_pk_add_f16 v50, v36, v52 op_sel_hi:[0,1]
	v_pk_add_f16 v2, v36, v2 op_sel_hi:[0,1]
	v_and_b32_e32 v36, 0x70007, v11
	v_and_b32_e32 v40, 0x380038, v11
	;; [unrolled: 1-line block ×5, first 2 shown]
	v_lshrrev_b32_e32 v11, 15, v11
	v_and_b32_e32 v80, 0x70007, v79
	v_and_b32_e32 v81, 0x380038, v79
	;; [unrolled: 1-line block ×6, first 2 shown]
	v_lshrrev_b32_e32 v84, 6, v3
	v_lshrrev_b32_e32 v3, 13, v3
	v_or_b32_e32 v36, 0x64006400, v36
	v_or_b32_e32 v40, 0x64006400, v40
	;; [unrolled: 1-line block ×11, first 2 shown]
	v_and_b32_e32 v85, 0x70007, v84
	v_and_b32_e32 v86, 0x380038, v84
	;; [unrolled: 1-line block ×4, first 2 shown]
	v_and_or_b32 v7, v11, s72, v7
	v_or_b32_e32 v83, 0x64006400, v83
	v_or_b32_e32 v85, 0x64006400, v85
	;; [unrolled: 1-line block ×4, first 2 shown]
	v_or3_b32 v3, v7, v3, s71
	v_pk_add_f16 v7, v18, v36 op_sel_hi:[0,1]
	v_pk_fma_f16 v11, v40, s73, v19 op_sel_hi:[1,0,0]
	v_pk_add_f16 v36, v18, v51 op_sel_hi:[0,1]
	v_pk_fma_f16 v40, v52, s73, v19 op_sel_hi:[1,0,0]
	v_pk_fma_f16 v41, v41, s74, v20 op_sel_hi:[1,0,0]
	v_pk_add_f16 v51, v18, v53 op_sel_hi:[0,1]
	v_pk_fma_f16 v52, v78, s73, v19 op_sel_hi:[1,0,0]
	v_pk_add_f16 v53, v18, v80 op_sel_hi:[0,1]
	v_pk_fma_f16 v80, v81, s73, v19 op_sel_hi:[1,0,0]
	v_pk_fma_f16 v81, v79, s74, v20 op_sel_hi:[1,0,0]
	;; [unrolled: 5-line block ×3, first 2 shown]
	v_pk_add_f16 v3, v18, v3 op_sel_hi:[0,1]
	v_pk_mul_f16 v18, v66, v4
	v_pk_mul_f16 v19, v65, v5
	;; [unrolled: 1-line block ×44, first 2 shown]
	v_perm_b32 v4, v19, v18, s31
	v_perm_b32 v5, v7, v6, s31
	;; [unrolled: 1-line block ×4, first 2 shown]
	v_pack_b32_f16 v52, v20, v21
	v_pack_b32_f16 v53, v10, v11
	v_perm_b32 v42, v21, v20, s31
	v_perm_b32 v43, v11, v10, s31
	v_pack_b32_f16 v48, v28, v38
	v_pack_b32_f16 v49, v39, v36
	v_perm_b32 v40, v38, v28, s31
	v_perm_b32 v41, v36, v39, s31
	;; [unrolled: 4-line block ×10, first 2 shown]
	v_pk_mul_f16 v83, v66, v70
	v_pk_mul_f16 v84, v65, v74
	;; [unrolled: 1-line block ×20, first 2 shown]
	s_cbranch_vccnz .LBB2_44
; %bb.43:                               ;   in Loop: Header=BB2_24 Depth=1
	v_mov_b32_e32 v0, s69
	ds_read_b128 v[88:91], v0
	ds_read_b128 v[92:95], v0 offset:16
	v_mov_b32_e32 v87, s21
	s_waitcnt lgkmcnt(1)
	v_mul_lo_u32 v1, v88, s34
	v_add_u32_e32 v88, v1, v12
	v_mul_lo_u32 v2, v89, s13
	v_ashrrev_i32_e32 v89, 31, v88
	v_add_u32_e32 v2, v2, v15
	v_lshlrev_b64 v[88:89], 1, v[88:89]
	v_add_co_u32_e32 v88, vcc, s20, v88
	v_ashrrev_i32_e32 v3, 31, v2
	v_addc_co_u32_e32 v89, vcc, v87, v89, vcc
	v_lshlrev_b64 v[2:3], 1, v[2:3]
	v_add_co_u32_e32 v2, vcc, s20, v2
	v_mul_lo_u32 v1, v90, s34
	global_store_dwordx2 v[88:89], v[50:51], off
	v_addc_co_u32_e32 v3, vcc, v87, v3, vcc
	v_add_u32_e32 v88, v1, v12
	global_store_dwordx2 v[2:3], v[4:5], off
	v_mul_lo_u32 v2, v91, s13
	v_ashrrev_i32_e32 v89, 31, v88
	v_add_u32_e32 v2, v2, v15
	v_lshlrev_b64 v[88:89], 1, v[88:89]
	v_add_co_u32_e32 v88, vcc, s20, v88
	v_ashrrev_i32_e32 v3, 31, v2
	v_addc_co_u32_e32 v89, vcc, v87, v89, vcc
	v_lshlrev_b64 v[2:3], 1, v[2:3]
	v_add_co_u32_e32 v2, vcc, s20, v2
	s_waitcnt lgkmcnt(0)
	v_mul_lo_u32 v1, v92, s34
	global_store_dwordx2 v[88:89], v[52:53], off
	v_addc_co_u32_e32 v3, vcc, v87, v3, vcc
	v_add_u32_e32 v88, v1, v12
	global_store_dwordx2 v[2:3], v[42:43], off
	v_mul_lo_u32 v2, v93, s13
	v_ashrrev_i32_e32 v89, 31, v88
	v_add_u32_e32 v2, v2, v15
	v_lshlrev_b64 v[88:89], 1, v[88:89]
	v_add_co_u32_e32 v88, vcc, s20, v88
	v_ashrrev_i32_e32 v3, 31, v2
	v_addc_co_u32_e32 v89, vcc, v87, v89, vcc
	v_lshlrev_b64 v[2:3], 1, v[2:3]
	v_add_co_u32_e32 v2, vcc, s20, v2
	v_mul_lo_u32 v1, v94, s34
	global_store_dwordx2 v[88:89], v[48:49], off
	v_addc_co_u32_e32 v3, vcc, v87, v3, vcc
	v_add_u32_e32 v92, v1, v12
	ds_read_b128 v[88:91], v0 offset:32
	ds_read_b128 v[96:99], v0 offset:48
	global_store_dwordx2 v[2:3], v[40:41], off
	v_mul_lo_u32 v2, v95, s13
	v_ashrrev_i32_e32 v93, 31, v92
	v_add_u32_e32 v2, v2, v15
	v_lshlrev_b64 v[92:93], 1, v[92:93]
	v_add_co_u32_e32 v92, vcc, s20, v92
	v_ashrrev_i32_e32 v3, 31, v2
	v_addc_co_u32_e32 v93, vcc, v87, v93, vcc
	v_lshlrev_b64 v[2:3], 1, v[2:3]
	v_add_co_u32_e32 v2, vcc, s20, v2
	s_waitcnt lgkmcnt(1)
	v_mul_lo_u32 v1, v88, s34
	v_addc_co_u32_e32 v3, vcc, v87, v3, vcc
	v_add_u32_e32 v88, v1, v12
	global_store_dwordx2 v[92:93], v[46:47], off
	global_store_dwordx2 v[2:3], v[36:37], off
	v_mul_lo_u32 v2, v89, s13
	v_ashrrev_i32_e32 v89, 31, v88
	v_add_u32_e32 v2, v2, v15
	v_lshlrev_b64 v[88:89], 1, v[88:89]
	v_add_co_u32_e32 v88, vcc, s20, v88
	v_ashrrev_i32_e32 v3, 31, v2
	v_addc_co_u32_e32 v89, vcc, v87, v89, vcc
	v_lshlrev_b64 v[2:3], 1, v[2:3]
	v_add_co_u32_e32 v2, vcc, s20, v2
	v_mul_lo_u32 v1, v90, s34
	global_store_dwordx2 v[88:89], v[44:45], off
	v_addc_co_u32_e32 v3, vcc, v87, v3, vcc
	v_add_u32_e32 v88, v1, v12
	global_store_dwordx2 v[2:3], v[34:35], off
	v_mul_lo_u32 v2, v91, s13
	v_ashrrev_i32_e32 v89, 31, v88
	v_add_u32_e32 v2, v2, v15
	v_lshlrev_b64 v[88:89], 1, v[88:89]
	v_add_co_u32_e32 v88, vcc, s20, v88
	v_ashrrev_i32_e32 v3, 31, v2
	v_addc_co_u32_e32 v89, vcc, v87, v89, vcc
	v_lshlrev_b64 v[2:3], 1, v[2:3]
	s_waitcnt lgkmcnt(0)
	v_mul_lo_u32 v1, v96, s34
	global_store_dwordx2 v[88:89], v[38:39], off
	v_add_co_u32_e32 v2, vcc, s20, v2
	v_add_u32_e32 v88, v1, v12
	v_addc_co_u32_e32 v3, vcc, v87, v3, vcc
	v_ashrrev_i32_e32 v89, 31, v88
	global_store_dwordx2 v[2:3], v[30:31], off
	v_mul_lo_u32 v2, v97, s13
	v_lshlrev_b64 v[88:89], 1, v[88:89]
	v_add_u32_e32 v2, v2, v15
	v_add_co_u32_e32 v88, vcc, s20, v88
	v_addc_co_u32_e32 v89, vcc, v87, v89, vcc
	v_ashrrev_i32_e32 v3, 31, v2
	v_mul_lo_u32 v1, v98, s34
	global_store_dwordx2 v[88:89], v[32:33], off
	v_lshlrev_b64 v[2:3], 1, v[2:3]
	v_add_u32_e32 v88, v1, v12
	v_add_co_u32_e32 v2, vcc, s20, v2
	v_ashrrev_i32_e32 v89, 31, v88
	v_addc_co_u32_e32 v3, vcc, v87, v3, vcc
	v_lshlrev_b64 v[88:89], 1, v[88:89]
	v_add_co_u32_e32 v88, vcc, s20, v88
	v_addc_co_u32_e32 v89, vcc, v87, v89, vcc
	global_store_dwordx2 v[2:3], v[24:25], off
	global_store_dwordx2 v[88:89], v[28:29], off
	ds_read_b128 v[88:91], v0 offset:64
	ds_read_b128 v[92:95], v0 offset:80
	v_mul_lo_u32 v2, v99, s13
	v_add_u32_e32 v2, v2, v15
	v_ashrrev_i32_e32 v3, 31, v2
	v_lshlrev_b64 v[2:3], 1, v[2:3]
	v_add_co_u32_e32 v2, vcc, s20, v2
	s_waitcnt lgkmcnt(1)
	v_mul_lo_u32 v1, v88, s34
	v_addc_co_u32_e32 v3, vcc, v87, v3, vcc
	v_add_u32_e32 v88, v1, v12
	global_store_dwordx2 v[2:3], v[20:21], off
	v_mul_lo_u32 v2, v89, s13
	v_ashrrev_i32_e32 v89, 31, v88
	v_add_u32_e32 v2, v2, v15
	v_lshlrev_b64 v[88:89], 1, v[88:89]
	v_add_co_u32_e32 v88, vcc, s20, v88
	v_ashrrev_i32_e32 v3, 31, v2
	v_addc_co_u32_e32 v89, vcc, v87, v89, vcc
	v_lshlrev_b64 v[2:3], 1, v[2:3]
	v_add_co_u32_e32 v2, vcc, s20, v2
	v_mul_lo_u32 v1, v90, s34
	global_store_dwordx2 v[88:89], v[26:27], off
	v_addc_co_u32_e32 v3, vcc, v87, v3, vcc
	v_add_u32_e32 v88, v1, v12
	global_store_dwordx2 v[2:3], v[18:19], off
	v_mul_lo_u32 v2, v91, s13
	v_ashrrev_i32_e32 v89, 31, v88
	v_add_u32_e32 v2, v2, v15
	v_lshlrev_b64 v[88:89], 1, v[88:89]
	v_add_co_u32_e32 v88, vcc, s20, v88
	v_ashrrev_i32_e32 v3, 31, v2
	v_addc_co_u32_e32 v89, vcc, v87, v89, vcc
	v_lshlrev_b64 v[2:3], 1, v[2:3]
	v_add_co_u32_e32 v2, vcc, s20, v2
	s_waitcnt lgkmcnt(0)
	v_mul_lo_u32 v1, v92, s34
	global_store_dwordx2 v[88:89], v[22:23], off
	v_addc_co_u32_e32 v3, vcc, v87, v3, vcc
	v_add_u32_e32 v88, v1, v12
	global_store_dwordx2 v[2:3], v[8:9], off
	v_mul_lo_u32 v2, v93, s13
	v_ashrrev_i32_e32 v89, 31, v88
	v_add_u32_e32 v2, v2, v15
	v_lshlrev_b64 v[88:89], 1, v[88:89]
	v_add_co_u32_e32 v88, vcc, s20, v88
	v_ashrrev_i32_e32 v3, 31, v2
	v_mul_lo_u32 v1, v94, s34
	v_addc_co_u32_e32 v89, vcc, v87, v89, vcc
	v_lshlrev_b64 v[2:3], 1, v[2:3]
	v_add_u32_e32 v92, v1, v12
	v_add_co_u32_e32 v2, vcc, s20, v2
	v_ashrrev_i32_e32 v93, 31, v92
	v_addc_co_u32_e32 v3, vcc, v87, v3, vcc
	v_mul_lo_u32 v90, v95, s13
	v_lshlrev_b64 v[92:93], 1, v[92:93]
	v_add_u32_e32 v90, v90, v15
	v_add_co_u32_e32 v92, vcc, s20, v92
	global_store_dwordx2 v[88:89], v[10:11], off
	global_store_dwordx2 v[2:3], v[6:7], off
	v_pack_b32_f16 v2, v83, v84
	v_pack_b32_f16 v3, v85, v86
	v_addc_co_u32_e32 v93, vcc, v87, v93, vcc
	v_ashrrev_i32_e32 v91, 31, v90
	global_store_dwordx2 v[92:93], v[2:3], off
	v_lshlrev_b64 v[2:3], 1, v[90:91]
	v_add_co_u32_e32 v2, vcc, s20, v2
	v_perm_b32 v88, v84, v83, s31
	v_perm_b32 v89, v86, v85, s31
	v_addc_co_u32_e32 v3, vcc, v87, v3, vcc
	global_store_dwordx2 v[2:3], v[88:89], off
	ds_read_b128 v[88:91], v0 offset:96
	v_pack_b32_f16 v92, v79, v80
	v_pack_b32_f16 v93, v81, v82
	v_perm_b32 v94, v80, v79, s31
	v_perm_b32 v95, v82, v81, s31
	s_waitcnt lgkmcnt(0)
	v_mul_lo_u32 v88, v88, s34
	v_add_u32_e32 v96, v88, v12
	v_ashrrev_i32_e32 v97, 31, v96
	v_mul_lo_u32 v88, v89, s13
	v_lshlrev_b64 v[96:97], 1, v[96:97]
	v_add_u32_e32 v88, v88, v15
	v_add_co_u32_e32 v96, vcc, s20, v96
	v_ashrrev_i32_e32 v89, 31, v88
	v_addc_co_u32_e32 v97, vcc, v87, v97, vcc
	v_lshlrev_b64 v[88:89], 1, v[88:89]
	v_add_co_u32_e32 v88, vcc, s20, v88
	v_addc_co_u32_e32 v89, vcc, v87, v89, vcc
	global_store_dwordx2 v[96:97], v[92:93], off
	global_store_dwordx2 v[88:89], v[94:95], off
	v_mul_lo_u32 v94, v90, s34
	v_add_u32_e32 v94, v94, v12
	v_ashrrev_i32_e32 v95, 31, v94
	v_mul_lo_u32 v90, v91, s13
	v_lshlrev_b64 v[94:95], 1, v[94:95]
	ds_read_b128 v[0:3], v0 offset:112
	v_add_u32_e32 v90, v90, v15
	v_add_co_u32_e32 v94, vcc, s20, v94
	v_pack_b32_f16 v88, v75, v76
	v_pack_b32_f16 v89, v77, v78
	v_addc_co_u32_e32 v95, vcc, v87, v95, vcc
	v_ashrrev_i32_e32 v91, 31, v90
	global_store_dwordx2 v[94:95], v[88:89], off
	v_lshlrev_b64 v[88:89], 1, v[90:91]
	v_add_co_u32_e32 v88, vcc, s20, v88
	v_perm_b32 v92, v76, v75, s31
	v_perm_b32 v93, v78, v77, s31
	v_addc_co_u32_e32 v89, vcc, v87, v89, vcc
	global_store_dwordx2 v[88:89], v[92:93], off
	s_waitcnt lgkmcnt(0)
	v_mul_lo_u32 v92, v0, s34
	v_add_u32_e32 v92, v92, v12
	v_ashrrev_i32_e32 v93, 31, v92
	v_mul_lo_u32 v0, v1, s13
	v_lshlrev_b64 v[92:93], 1, v[92:93]
	v_add_u32_e32 v0, v0, v15
	v_add_co_u32_e32 v92, vcc, s20, v92
	v_pack_b32_f16 v88, v71, v72
	v_pack_b32_f16 v89, v73, v74
	v_addc_co_u32_e32 v93, vcc, v87, v93, vcc
	v_ashrrev_i32_e32 v1, 31, v0
	v_mul_lo_u32 v2, v2, s13
	global_store_dwordx2 v[92:93], v[88:89], off
	v_lshlrev_b64 v[0:1], 1, v[0:1]
	v_add_u32_e32 v88, v2, v12
	v_add_co_u32_e32 v0, vcc, s20, v0
	v_ashrrev_i32_e32 v89, 31, v88
	v_addc_co_u32_e32 v1, vcc, v87, v1, vcc
	v_lshlrev_b64 v[88:89], 1, v[88:89]
	v_perm_b32 v90, v72, v71, s31
	v_perm_b32 v91, v74, v73, s31
	v_add_co_u32_e32 v88, vcc, s20, v88
	global_store_dwordx2 v[0:1], v[90:91], off
	v_pack_b32_f16 v0, v67, v68
	v_pack_b32_f16 v1, v69, v70
	v_addc_co_u32_e32 v89, vcc, v87, v89, vcc
	global_store_dwordx2 v[88:89], v[0:1], off
	v_perm_b32 v0, v68, v67, s31
	v_perm_b32 v1, v70, v69, s31
	s_cbranch_execnz .LBB2_23
	s_branch .LBB2_45
.LBB2_44:                               ;   in Loop: Header=BB2_24 Depth=1
                                        ; implicit-def: $vgpr1
                                        ; implicit-def: $vgpr3
.LBB2_45:                               ;   in Loop: Header=BB2_24 Depth=1
	v_add_u32_e32 v0, s68, v54
	v_ashrrev_i32_e32 v1, 31, v0
	v_lshlrev_b64 v[2:3], 1, v[0:1]
	v_mov_b32_e32 v0, s21
	v_add_co_u32_e32 v2, vcc, s20, v2
	v_addc_co_u32_e32 v3, vcc, v0, v3, vcc
	global_store_dwordx2 v[2:3], v[50:51], off
	v_add_u32_e32 v2, s67, v54
	v_ashrrev_i32_e32 v3, 31, v2
	v_lshlrev_b64 v[2:3], 1, v[2:3]
	v_add_co_u32_e32 v2, vcc, s20, v2
	v_addc_co_u32_e32 v3, vcc, v0, v3, vcc
	global_store_dwordx2 v[2:3], v[4:5], off
	v_add_u32_e32 v2, s65, v54
	v_ashrrev_i32_e32 v3, 31, v2
	v_lshlrev_b64 v[2:3], 1, v[2:3]
	v_add_co_u32_e32 v2, vcc, s20, v2
	v_addc_co_u32_e32 v3, vcc, v0, v3, vcc
	global_store_dwordx2 v[2:3], v[52:53], off
	v_add_u32_e32 v2, s66, v54
	v_ashrrev_i32_e32 v3, 31, v2
	v_lshlrev_b64 v[2:3], 1, v[2:3]
	v_add_co_u32_e32 v2, vcc, s20, v2
	v_addc_co_u32_e32 v3, vcc, v0, v3, vcc
	global_store_dwordx2 v[2:3], v[42:43], off
	v_add_u32_e32 v2, s63, v54
	v_ashrrev_i32_e32 v3, 31, v2
	v_lshlrev_b64 v[2:3], 1, v[2:3]
	v_add_co_u32_e32 v2, vcc, s20, v2
	v_addc_co_u32_e32 v3, vcc, v0, v3, vcc
	global_store_dwordx2 v[2:3], v[48:49], off
	v_add_u32_e32 v2, s64, v54
	v_ashrrev_i32_e32 v3, 31, v2
	v_lshlrev_b64 v[2:3], 1, v[2:3]
	v_add_co_u32_e32 v2, vcc, s20, v2
	v_addc_co_u32_e32 v3, vcc, v0, v3, vcc
	global_store_dwordx2 v[2:3], v[40:41], off
	v_add_u32_e32 v2, s61, v54
	v_ashrrev_i32_e32 v3, 31, v2
	v_lshlrev_b64 v[2:3], 1, v[2:3]
	v_add_co_u32_e32 v2, vcc, s20, v2
	v_addc_co_u32_e32 v3, vcc, v0, v3, vcc
	global_store_dwordx2 v[2:3], v[46:47], off
	v_add_u32_e32 v2, s62, v54
	v_ashrrev_i32_e32 v3, 31, v2
	v_lshlrev_b64 v[2:3], 1, v[2:3]
	v_add_co_u32_e32 v2, vcc, s20, v2
	v_addc_co_u32_e32 v3, vcc, v0, v3, vcc
	global_store_dwordx2 v[2:3], v[36:37], off
	v_add_u32_e32 v2, s59, v54
	v_ashrrev_i32_e32 v3, 31, v2
	v_lshlrev_b64 v[2:3], 1, v[2:3]
	v_add_co_u32_e32 v2, vcc, s20, v2
	v_addc_co_u32_e32 v3, vcc, v0, v3, vcc
	global_store_dwordx2 v[2:3], v[44:45], off
	v_add_u32_e32 v2, s60, v54
	v_ashrrev_i32_e32 v3, 31, v2
	v_lshlrev_b64 v[2:3], 1, v[2:3]
	v_add_co_u32_e32 v2, vcc, s20, v2
	v_addc_co_u32_e32 v3, vcc, v0, v3, vcc
	global_store_dwordx2 v[2:3], v[34:35], off
	v_add_u32_e32 v2, s57, v54
	v_ashrrev_i32_e32 v3, 31, v2
	v_lshlrev_b64 v[2:3], 1, v[2:3]
	v_add_co_u32_e32 v2, vcc, s20, v2
	v_addc_co_u32_e32 v3, vcc, v0, v3, vcc
	global_store_dwordx2 v[2:3], v[38:39], off
	v_add_u32_e32 v2, s58, v54
	v_ashrrev_i32_e32 v3, 31, v2
	v_lshlrev_b64 v[2:3], 1, v[2:3]
	v_add_co_u32_e32 v2, vcc, s20, v2
	v_addc_co_u32_e32 v3, vcc, v0, v3, vcc
	global_store_dwordx2 v[2:3], v[30:31], off
	v_add_u32_e32 v2, s55, v54
	v_ashrrev_i32_e32 v3, 31, v2
	v_lshlrev_b64 v[2:3], 1, v[2:3]
	v_add_co_u32_e32 v2, vcc, s20, v2
	v_addc_co_u32_e32 v3, vcc, v0, v3, vcc
	global_store_dwordx2 v[2:3], v[32:33], off
	v_add_u32_e32 v2, s56, v54
	v_ashrrev_i32_e32 v3, 31, v2
	v_lshlrev_b64 v[2:3], 1, v[2:3]
	v_add_co_u32_e32 v2, vcc, s20, v2
	v_addc_co_u32_e32 v3, vcc, v0, v3, vcc
	global_store_dwordx2 v[2:3], v[24:25], off
	v_add_u32_e32 v2, s53, v54
	v_ashrrev_i32_e32 v3, 31, v2
	v_lshlrev_b64 v[2:3], 1, v[2:3]
	v_add_co_u32_e32 v2, vcc, s20, v2
	v_addc_co_u32_e32 v3, vcc, v0, v3, vcc
	global_store_dwordx2 v[2:3], v[28:29], off
	v_add_u32_e32 v2, s54, v54
	v_ashrrev_i32_e32 v3, 31, v2
	v_lshlrev_b64 v[2:3], 1, v[2:3]
	v_add_co_u32_e32 v2, vcc, s20, v2
	v_addc_co_u32_e32 v3, vcc, v0, v3, vcc
	global_store_dwordx2 v[2:3], v[20:21], off
	v_add_u32_e32 v2, s51, v54
	v_ashrrev_i32_e32 v3, 31, v2
	v_lshlrev_b64 v[2:3], 1, v[2:3]
	v_add_co_u32_e32 v2, vcc, s20, v2
	v_addc_co_u32_e32 v3, vcc, v0, v3, vcc
	global_store_dwordx2 v[2:3], v[26:27], off
	v_add_u32_e32 v2, s52, v54
	v_ashrrev_i32_e32 v3, 31, v2
	v_lshlrev_b64 v[2:3], 1, v[2:3]
	v_add_co_u32_e32 v2, vcc, s20, v2
	v_addc_co_u32_e32 v3, vcc, v0, v3, vcc
	global_store_dwordx2 v[2:3], v[18:19], off
	v_add_u32_e32 v2, s49, v54
	v_ashrrev_i32_e32 v3, 31, v2
	v_lshlrev_b64 v[2:3], 1, v[2:3]
	v_add_co_u32_e32 v2, vcc, s20, v2
	v_addc_co_u32_e32 v3, vcc, v0, v3, vcc
	global_store_dwordx2 v[2:3], v[22:23], off
	v_add_u32_e32 v2, s50, v54
	v_ashrrev_i32_e32 v3, 31, v2
	v_lshlrev_b64 v[2:3], 1, v[2:3]
	v_add_co_u32_e32 v2, vcc, s20, v2
	v_addc_co_u32_e32 v3, vcc, v0, v3, vcc
	global_store_dwordx2 v[2:3], v[8:9], off
	v_add_u32_e32 v2, s47, v54
	v_ashrrev_i32_e32 v3, 31, v2
	v_lshlrev_b64 v[2:3], 1, v[2:3]
	v_add_co_u32_e32 v2, vcc, s20, v2
	v_addc_co_u32_e32 v3, vcc, v0, v3, vcc
	global_store_dwordx2 v[2:3], v[10:11], off
	v_add_u32_e32 v2, s48, v54
	v_ashrrev_i32_e32 v3, 31, v2
	v_lshlrev_b64 v[2:3], 1, v[2:3]
	v_add_u32_e32 v4, s45, v54
	v_add_co_u32_e32 v2, vcc, s20, v2
	v_ashrrev_i32_e32 v5, 31, v4
	v_addc_co_u32_e32 v3, vcc, v0, v3, vcc
	v_lshlrev_b64 v[4:5], 1, v[4:5]
	v_add_co_u32_e32 v4, vcc, s20, v4
	global_store_dwordx2 v[2:3], v[6:7], off
	v_pack_b32_f16 v2, v83, v84
	v_pack_b32_f16 v3, v85, v86
	v_addc_co_u32_e32 v5, vcc, v0, v5, vcc
	global_store_dwordx2 v[4:5], v[2:3], off
	v_add_u32_e32 v4, s46, v54
	v_ashrrev_i32_e32 v5, 31, v4
	v_lshlrev_b64 v[4:5], 1, v[4:5]
	v_add_co_u32_e32 v4, vcc, s20, v4
	v_perm_b32 v2, v84, v83, s31
	v_perm_b32 v3, v86, v85, s31
	v_addc_co_u32_e32 v5, vcc, v0, v5, vcc
	global_store_dwordx2 v[4:5], v[2:3], off
	v_add_u32_e32 v4, s43, v54
	v_ashrrev_i32_e32 v5, 31, v4
	v_lshlrev_b64 v[4:5], 1, v[4:5]
	v_add_co_u32_e32 v4, vcc, s20, v4
	v_pack_b32_f16 v2, v79, v80
	v_pack_b32_f16 v3, v81, v82
	v_addc_co_u32_e32 v5, vcc, v0, v5, vcc
	global_store_dwordx2 v[4:5], v[2:3], off
	v_add_u32_e32 v4, s44, v54
	v_ashrrev_i32_e32 v5, 31, v4
	v_lshlrev_b64 v[4:5], 1, v[4:5]
	v_add_co_u32_e32 v4, vcc, s20, v4
	v_perm_b32 v2, v80, v79, s31
	v_perm_b32 v3, v82, v81, s31
	v_addc_co_u32_e32 v5, vcc, v0, v5, vcc
	global_store_dwordx2 v[4:5], v[2:3], off
	v_add_u32_e32 v4, s41, v54
	v_ashrrev_i32_e32 v5, 31, v4
	v_lshlrev_b64 v[4:5], 1, v[4:5]
	v_add_co_u32_e32 v4, vcc, s20, v4
	;; [unrolled: 16-line block ×4, first 2 shown]
	v_pack_b32_f16 v2, v67, v68
	v_pack_b32_f16 v3, v69, v70
	v_addc_co_u32_e32 v5, vcc, v0, v5, vcc
	s_add_i32 s14, s28, 31
	global_store_dwordx2 v[4:5], v[2:3], off
	v_perm_b32 v0, v68, v67, s31
	v_perm_b32 v1, v70, v69, s31
	v_mov_b32_e32 v3, s14
	s_branch .LBB2_23
.LBB2_46:
	s_endpgm
	.section	.rodata,"a",@progbits
	.p2align	6, 0x0
	.amdhsa_kernel _ZN4vllm4gptq31reconstruct_exllama_3bit_kernelEPKjPKiS2_PK6__halfiiibPS5_
		.amdhsa_group_segment_fixed_size 512
		.amdhsa_private_segment_fixed_size 0
		.amdhsa_kernarg_size 56
		.amdhsa_user_sgpr_count 6
		.amdhsa_user_sgpr_private_segment_buffer 1
		.amdhsa_user_sgpr_dispatch_ptr 0
		.amdhsa_user_sgpr_queue_ptr 0
		.amdhsa_user_sgpr_kernarg_segment_ptr 1
		.amdhsa_user_sgpr_dispatch_id 0
		.amdhsa_user_sgpr_flat_scratch_init 0
		.amdhsa_user_sgpr_kernarg_preload_length 0
		.amdhsa_user_sgpr_kernarg_preload_offset 0
		.amdhsa_user_sgpr_private_segment_size 0
		.amdhsa_uses_dynamic_stack 0
		.amdhsa_system_sgpr_private_segment_wavefront_offset 0
		.amdhsa_system_sgpr_workgroup_id_x 1
		.amdhsa_system_sgpr_workgroup_id_y 1
		.amdhsa_system_sgpr_workgroup_id_z 0
		.amdhsa_system_sgpr_workgroup_info 0
		.amdhsa_system_vgpr_workitem_id 0
		.amdhsa_next_free_vgpr 108
		.amdhsa_next_free_sgpr 76
		.amdhsa_accum_offset 108
		.amdhsa_reserve_vcc 1
		.amdhsa_reserve_flat_scratch 0
		.amdhsa_float_round_mode_32 0
		.amdhsa_float_round_mode_16_64 0
		.amdhsa_float_denorm_mode_32 3
		.amdhsa_float_denorm_mode_16_64 3
		.amdhsa_dx10_clamp 1
		.amdhsa_ieee_mode 1
		.amdhsa_fp16_overflow 0
		.amdhsa_tg_split 0
		.amdhsa_exception_fp_ieee_invalid_op 0
		.amdhsa_exception_fp_denorm_src 0
		.amdhsa_exception_fp_ieee_div_zero 0
		.amdhsa_exception_fp_ieee_overflow 0
		.amdhsa_exception_fp_ieee_underflow 0
		.amdhsa_exception_fp_ieee_inexact 0
		.amdhsa_exception_int_div_zero 0
	.end_amdhsa_kernel
	.text
.Lfunc_end2:
	.size	_ZN4vllm4gptq31reconstruct_exllama_3bit_kernelEPKjPKiS2_PK6__halfiiibPS5_, .Lfunc_end2-_ZN4vllm4gptq31reconstruct_exllama_3bit_kernelEPKjPKiS2_PK6__halfiiibPS5_
                                        ; -- End function
	.section	.AMDGPU.csdata,"",@progbits
; Kernel info:
; codeLenInByte = 7724
; NumSgprs: 80
; NumVgprs: 108
; NumAgprs: 0
; TotalNumVgprs: 108
; ScratchSize: 0
; MemoryBound: 0
; FloatMode: 240
; IeeeMode: 1
; LDSByteSize: 512 bytes/workgroup (compile time only)
; SGPRBlocks: 9
; VGPRBlocks: 13
; NumSGPRsForWavesPerEU: 80
; NumVGPRsForWavesPerEU: 108
; AccumOffset: 108
; Occupancy: 4
; WaveLimiterHint : 0
; COMPUTE_PGM_RSRC2:SCRATCH_EN: 0
; COMPUTE_PGM_RSRC2:USER_SGPR: 6
; COMPUTE_PGM_RSRC2:TRAP_HANDLER: 0
; COMPUTE_PGM_RSRC2:TGID_X_EN: 1
; COMPUTE_PGM_RSRC2:TGID_Y_EN: 1
; COMPUTE_PGM_RSRC2:TGID_Z_EN: 0
; COMPUTE_PGM_RSRC2:TIDIG_COMP_CNT: 0
; COMPUTE_PGM_RSRC3_GFX90A:ACCUM_OFFSET: 26
; COMPUTE_PGM_RSRC3_GFX90A:TG_SPLIT: 0
	.text
	.protected	_ZN4vllm4gptq31reconstruct_exllama_2bit_kernelEPKjPKiS2_PK6__halfiiibPS5_ ; -- Begin function _ZN4vllm4gptq31reconstruct_exllama_2bit_kernelEPKjPKiS2_PK6__halfiiibPS5_
	.globl	_ZN4vllm4gptq31reconstruct_exllama_2bit_kernelEPKjPKiS2_PK6__halfiiibPS5_
	.p2align	8
	.type	_ZN4vllm4gptq31reconstruct_exllama_2bit_kernelEPKjPKiS2_PK6__halfiiibPS5_,@function
_ZN4vllm4gptq31reconstruct_exllama_2bit_kernelEPKjPKiS2_PK6__halfiiibPS5_: ; @_ZN4vllm4gptq31reconstruct_exllama_2bit_kernelEPKjPKiS2_PK6__halfiiibPS5_
; %bb.0:
	s_load_dwordx2 s[8:9], s[4:5], 0x8
	s_load_dwordx4 s[0:3], s[4:5], 0x20
	s_lshl_b32 s16, s7, 7
	s_waitcnt lgkmcnt(0)
	s_cmp_lg_u64 s[8:9], 0
	s_cselect_b64 s[12:13], -1, 0
	s_cmp_eq_u64 s[8:9], 0
	s_cbranch_scc1 .LBB3_4
; %bb.1:
	v_add_u32_e32 v2, s16, v0
	v_cmp_gt_u32_e32 vcc, s0, v2
	s_and_saveexec_b64 s[10:11], vcc
	s_cbranch_execz .LBB3_3
; %bb.2:
	v_mov_b32_e32 v3, 0
	v_lshlrev_b64 v[2:3], 2, v[2:3]
	v_mov_b32_e32 v1, s9
	v_add_co_u32_e32 v2, vcc, s8, v2
	v_addc_co_u32_e32 v3, vcc, v1, v3, vcc
	global_load_dword v1, v[2:3], off
	v_lshlrev_b32_e32 v2, 2, v0
	s_waitcnt vmcnt(0)
	ds_write_b32 v2, v1
.LBB3_3:
	s_or_b64 exec, exec, s[10:11]
.LBB3_4:
	s_lshl_b32 s17, s6, 9
	v_lshlrev_b32_e32 v6, 2, v0
	v_add_u32_e32 v4, s17, v6
	v_cmp_gt_i32_e32 vcc, s1, v4
	s_and_saveexec_b64 s[6:7], vcc
	s_cbranch_execz .LBB3_16
; %bb.5:
	s_abs_i32 s6, s2
	v_cvt_f32_u32_e32 v1, s6
	s_sub_i32 s9, 0, s6
	s_abs_i32 s8, s0
	s_xor_b32 s2, s0, s2
	v_rcp_iflag_f32_e32 v1, v1
	s_add_i32 s7, s16, 0x80
	s_ashr_i32 s2, s2, 31
	v_cvt_f64_i32_e32 v[2:3], s0
	v_mul_f32_e32 v1, 0x4f7ffffe, v1
	v_cvt_u32_f32_e32 v1, v1
	v_cvt_f64_u32_e32 v[8:9], s7
	v_min_f64 v[2:3], v[8:9], v[2:3]
	v_cvt_i32_f64_e32 v40, v[2:3]
	v_readfirstlane_b32 s10, v1
	s_mul_i32 s9, s9, s10
	s_mul_hi_u32 s9, s10, s9
	s_add_i32 s10, s10, s9
	s_mul_hi_u32 s9, s8, s10
	s_mul_i32 s10, s9, s6
	s_sub_i32 s8, s8, s10
	s_add_i32 s11, s9, 1
	s_sub_i32 s10, s8, s6
	s_cmp_ge_u32 s8, s6
	s_cselect_b32 s9, s11, s9
	s_cselect_b32 s8, s10, s8
	s_add_i32 s10, s9, 1
	s_cmp_ge_u32 s8, s6
	s_cselect_b32 s6, s10, s9
	s_xor_b32 s6, s6, s2
	s_sub_i32 s18, s6, s2
	v_cvt_f32_u32_e32 v1, s18
	v_cmp_ge_i32_e32 vcc, s16, v40
	s_mov_b32 s0, 0
	s_and_b64 vcc, exec, vcc
	v_rcp_iflag_f32_e32 v1, v1
	s_waitcnt lgkmcnt(0)
	s_barrier
	v_mul_f32_e32 v1, 0x4f7ffffe, v1
	v_cvt_u32_f32_e32 v1, v1
	v_readfirstlane_b32 s2, v1
	s_cbranch_vccnz .LBB3_16
; %bb.6:
	s_sub_i32 s6, 0, s18
	s_mul_i32 s6, s6, s2
	s_mul_hi_u32 s6, s2, s6
	s_add_i32 s2, s2, s6
	s_mul_hi_u32 s2, s16, s2
	s_mul_i32 s6, s2, s18
	s_sub_i32 s6, s16, s6
	s_add_i32 s7, s2, 1
	s_sub_i32 s14, s6, s18
	s_cmp_ge_u32 s6, s18
	s_cselect_b32 s2, s7, s2
	s_cselect_b32 s6, s14, s6
	s_add_i32 s7, s2, 1
	s_cmp_ge_u32 s6, s18
	s_cselect_b32 s19, s7, s2
	s_mul_i32 s2, s19, s1
	s_load_dwordx4 s[8:11], s[4:5], 0x10
	s_ashr_i32 s6, s2, 31
	v_ashrrev_i32_e32 v5, 31, v4
	s_lshr_b32 s6, s6, 28
	v_lshrrev_b32_e32 v1, 28, v5
	s_add_i32 s6, s2, s6
	v_add_u32_e32 v1, v4, v1
	v_add_u32_e32 v8, s2, v4
	s_ashr_i32 s6, s6, 4
	v_ashrrev_i32_e32 v41, 4, v1
	v_ashrrev_i32_e32 v9, 31, v8
	v_add_u32_e32 v2, s6, v41
	v_lshlrev_b64 v[8:9], 1, v[8:9]
	v_ashrrev_i32_e32 v3, 31, v2
	s_waitcnt lgkmcnt(0)
	v_mov_b32_e32 v43, s11
	v_add_co_u32_e32 v8, vcc, s10, v8
	v_lshlrev_b64 v[2:3], 2, v[2:3]
	v_addc_co_u32_e32 v9, vcc, v43, v9, vcc
	v_mov_b32_e32 v42, s9
	v_add_co_u32_e32 v2, vcc, s8, v2
	v_addc_co_u32_e32 v3, vcc, v42, v3, vcc
	global_load_dword v2, v[2:3], off
	s_bitcmp1_b32 s3, 0
	global_load_dwordx2 v[10:11], v[8:9], off
	s_load_dwordx2 s[14:15], s[4:5], 0x0
	s_load_dwordx2 s[6:7], s[4:5], 0x30
	s_cselect_b64 s[4:5], -1, 0
	s_lshr_b32 s3, s16, 4
	s_xor_b64 s[4:5], s[4:5], -1
	v_lshlrev_b32_e32 v3, 3, v0
	v_lshlrev_b64 v[0:1], 2, v[4:5]
	v_cndmask_b32_e64 v5, 0, 1, s[4:5]
	s_mul_i32 s4, s3, s1
	s_ashr_i32 s5, s4, 31
	s_lshl_b64 s[4:5], s[4:5], 2
	s_waitcnt lgkmcnt(0)
	s_add_u32 s4, s14, s4
	s_addc_u32 s5, s15, s5
	s_mov_b32 s9, 0x7060302
	s_mov_b32 s11, 0x5040100
	;; [unrolled: 1-line block ×3, first 2 shown]
	v_and_b32_e32 v44, 24, v3
	s_ashr_i32 s3, s1, 31
	v_mov_b32_e32 v9, s5
	v_add_co_u32_e32 v8, vcc, s4, v0
	s_mov_b32 s20, s1
	v_mov_b32_e32 v7, v4
	s_movk_i32 s21, 0x3400
	s_movk_i32 s22, 0x2c00
	;; [unrolled: 1-line block ×3, first 2 shown]
	s_add_i32 s24, s18, s16
	s_add_i32 s25, s16, 15
	;; [unrolled: 1-line block ×3, first 2 shown]
	s_lshl_b32 s27, s1, 4
	s_add_i32 s28, s16, 13
	s_add_i32 s29, s16, 12
	;; [unrolled: 1-line block ×13, first 2 shown]
	s_lshl_b64 s[2:3], s[2:3], 2
	v_addc_co_u32_e32 v9, vcc, v9, v1, vcc
	s_mov_b32 s42, s16
	s_waitcnt vmcnt(1)
	v_lshrrev_b32_e32 v0, v3, v2
	v_bfe_u32 v49, v2, v44, 2
	s_waitcnt vmcnt(0)
	v_perm_b32 v48, v11, v11, s9
	v_perm_b32 v45, v11, v11, s11
	;; [unrolled: 1-line block ×4, first 2 shown]
	v_bfe_u32 v50, v0, 2, 2
	v_bfe_u32 v51, v0, 4, 2
	;; [unrolled: 1-line block ×3, first 2 shown]
	s_branch .LBB3_8
.LBB3_7:                                ;   in Loop: Header=BB3_8 Depth=1
	s_add_i32 s42, s42, 32
	v_cmp_ge_i32_e32 vcc, s42, v40
	s_cbranch_vccnz .LBB3_16
.LBB3_8:                                ; =>This Loop Header: Depth=1
                                        ;     Child Loop BB3_12 Depth 2
	s_cmp_lg_u32 s42, s24
	s_cbranch_scc1 .LBB3_10
; %bb.9:                                ;   in Loop: Header=BB3_8 Depth=1
	s_add_i32 s19, s19, 1
	s_mul_i32 s4, s19, s1
	s_ashr_i32 s5, s4, 31
	s_lshr_b32 s5, s5, 28
	s_add_i32 s5, s4, s5
	v_add_u32_e32 v2, s4, v4
	s_ashr_i32 s5, s5, 4
	v_ashrrev_i32_e32 v3, 31, v2
	v_add_u32_e32 v0, s5, v41
	v_lshlrev_b64 v[2:3], 1, v[2:3]
	v_ashrrev_i32_e32 v1, 31, v0
	v_add_co_u32_e32 v2, vcc, s10, v2
	v_lshlrev_b64 v[0:1], 2, v[0:1]
	v_addc_co_u32_e32 v3, vcc, v43, v3, vcc
	v_add_co_u32_e32 v0, vcc, s8, v0
	v_addc_co_u32_e32 v1, vcc, v42, v1, vcc
	global_load_dword v0, v[0:1], off
	s_add_i32 s24, s24, s18
	global_load_dwordx2 v[2:3], v[2:3], off
	s_waitcnt vmcnt(1)
	v_lshrrev_b32_e32 v1, v44, v0
	v_bfe_u32 v49, v0, v44, 2
	s_waitcnt vmcnt(0)
	v_perm_b32 v47, v2, v2, s11
	v_perm_b32 v46, v2, v2, s9
	;; [unrolled: 1-line block ×3, first 2 shown]
	v_bfe_u32 v50, v1, 2, 2
	v_bfe_u32 v51, v1, 4, 2
	;; [unrolled: 1-line block ×3, first 2 shown]
	v_perm_b32 v48, v3, v3, s9
.LBB3_10:                               ;   in Loop: Header=BB3_8 Depth=1
	s_add_i32 s4, s26, s0
	s_mul_i32 s4, s1, s4
	s_add_i32 s44, s17, s4
	s_add_i32 s4, s28, s0
	s_mul_i32 s4, s1, s4
	s_add_i32 s45, s17, s4
	s_add_i32 s4, s29, s0
	v_add_u32_e32 v0, v49, v5
	s_mul_i32 s4, s1, s4
	v_cvt_f32_i32_e32 v1, v0
	s_add_i32 s46, s17, s4
	s_add_i32 s4, s30, s0
	s_mul_i32 s4, s1, s4
	s_add_i32 s47, s17, s4
	s_add_i32 s4, s31, s0
	s_mul_i32 s4, s1, s4
	v_add_u32_e32 v2, v50, v5
	v_cvt_f16_f32_e32 v1, v1
	s_add_i32 s48, s17, s4
	s_add_i32 s4, s33, s0
	v_cvt_f32_i32_e32 v3, v2
	s_mul_i32 s4, s1, s4
	s_add_i32 s49, s17, s4
	s_add_i32 s4, s34, s0
	v_or_b32_e32 v0, 0xffffe400, v0
	s_mul_i32 s4, s1, s4
	v_perm_b32 v53, v0, v0, s11
	v_sub_f16_e32 v0, 0xdc00, v1
	s_add_i32 s50, s17, s4
	s_add_i32 s4, s35, s0
	v_sub_f16_e32 v10, 0xd400, v1
	v_pack_b32_f16 v54, v0, v0
	v_cvt_f16_f32_e32 v0, v3
	s_mul_i32 s4, s1, s4
	v_pack_b32_f16 v55, v10, v10
	v_add_u32_e32 v10, v51, v5
	s_add_i32 s51, s17, s4
	s_add_i32 s4, s36, s0
	v_cvt_f32_i32_e32 v11, v10
	s_mul_i32 s4, s1, s4
	v_sub_f16_e32 v1, 0xcc00, v1
	s_add_i32 s52, s17, s4
	s_add_i32 s4, s37, s0
	v_pack_b32_f16 v56, v1, v1
	v_or_b32_e32 v1, 0xffffe400, v2
	v_sub_f16_e32 v2, 0xdc00, v0
	v_sub_f16_e32 v3, 0xd400, v0
	;; [unrolled: 1-line block ×3, first 2 shown]
	s_mul_i32 s4, s1, s4
	v_pack_b32_f16 v60, v0, v0
	v_or_b32_e32 v0, 0xffffe400, v10
	v_add_u32_e32 v10, v52, v5
	s_add_i32 s53, s17, s4
	s_add_i32 s4, s38, s0
	v_perm_b32 v57, v1, v1, s11
	v_cvt_f16_f32_e32 v1, v11
	v_cvt_f32_i32_e32 v11, v10
	s_mul_i32 s4, s1, s4
	s_add_i32 s54, s17, s4
	s_add_i32 s4, s39, s0
	s_mul_i32 s4, s1, s4
	s_add_i32 s55, s17, s4
	s_add_i32 s4, s40, s0
	v_perm_b32 v61, v0, v0, s11
	v_cvt_f16_f32_e32 v0, v11
	s_mul_i32 s4, s1, s4
	s_add_i32 s56, s17, s4
	s_add_i32 s4, s41, s0
	s_mul_i32 s4, s1, s4
	v_pack_b32_f16 v58, v2, v2
	v_pack_b32_f16 v59, v3, v3
	v_sub_f16_e32 v2, 0xdc00, v1
	v_sub_f16_e32 v3, 0xd400, v1
	;; [unrolled: 1-line block ×3, first 2 shown]
	s_add_i32 s57, s17, s4
	s_add_i32 s4, s16, s0
	v_pack_b32_f16 v62, v2, v2
	v_pack_b32_f16 v63, v3, v3
	;; [unrolled: 1-line block ×3, first 2 shown]
	v_or_b32_e32 v1, 0xffffe400, v10
	v_sub_f16_e32 v2, 0xdc00, v0
	v_sub_f16_e32 v3, 0xd400, v0
	;; [unrolled: 1-line block ×3, first 2 shown]
	s_mul_i32 s4, s1, s4
	v_perm_b32 v65, v1, v1, s11
	v_pack_b32_f16 v66, v2, v2
	v_pack_b32_f16 v67, v3, v3
	;; [unrolled: 1-line block ×3, first 2 shown]
	s_lshl_b32 s43, s0, 2
	s_add_i32 s58, s17, s4
	s_mov_b64 s[4:5], -1
	s_branch .LBB3_12
.LBB3_11:                               ;   in Loop: Header=BB3_12 Depth=2
	v_mul_lo_u32 v0, v37, s1
	v_add_u32_e32 v0, v0, v4
	v_ashrrev_i32_e32 v1, 31, v0
	v_lshlrev_b64 v[0:1], 1, v[0:1]
	v_mov_b32_e32 v2, s7
	v_add_co_u32_e32 v0, vcc, s6, v0
	v_addc_co_u32_e32 v1, vcc, v2, v1, vcc
	global_store_dwordx2 v[0:1], v[38:39], off
	v_mov_b32_e32 v0, s3
	v_add_co_u32_e32 v8, vcc, s2, v8
	s_xor_b64 s[14:15], s[4:5], -1
	v_addc_co_u32_e32 v9, vcc, v9, v0, vcc
	s_add_i32 s0, s0, 16
	s_add_i32 s43, s43, 64
	;; [unrolled: 1-line block ×17, first 2 shown]
	s_mov_b64 s[4:5], 0
	s_and_b64 vcc, exec, s[14:15]
	s_cbranch_vccnz .LBB3_7
.LBB3_12:                               ;   Parent Loop BB3_8 Depth=1
                                        ; =>  This Inner Loop Header: Depth=2
	global_load_dwordx4 v[0:3], v[8:9], off
	s_andn2_b64 vcc, exec, s[12:13]
	s_waitcnt vmcnt(0)
	v_and_b32_e32 v10, 0x30003, v0
	v_and_b32_e32 v11, 0xc000c, v0
	;; [unrolled: 1-line block ×4, first 2 shown]
	v_lshrrev_b32_e32 v0, 8, v0
	v_and_b32_e32 v14, 0x30003, v1
	v_and_b32_e32 v15, 0xc000c, v1
	;; [unrolled: 1-line block ×4, first 2 shown]
	v_lshrrev_b32_e32 v1, 8, v1
	v_and_b32_e32 v28, 0x300030, v0
	v_and_b32_e32 v29, 0x30003, v1
	;; [unrolled: 1-line block ×6, first 2 shown]
	v_lshrrev_b32_e32 v2, 8, v2
	v_and_b32_e32 v22, 0x30003, v3
	v_and_b32_e32 v23, 0xc000c, v3
	;; [unrolled: 1-line block ×4, first 2 shown]
	v_or_b32_e32 v28, 0x64006400, v28
	v_or_b32_e32 v29, 0x64006400, v29
	v_lshrrev_b32_e32 v3, 8, v3
	v_and_b32_e32 v26, 0x30003, v0
	v_and_b32_e32 v27, 0xc000c, v0
	;; [unrolled: 1-line block ×10, first 2 shown]
	v_pk_fma_f16 v35, v28, s22, v55 op_sel_hi:[1,0,1]
	v_pk_add_f16 v36, v57, v29
	v_and_b32_e32 v28, 0x30003, v3
	v_and_b32_e32 v29, 0xc000c, v3
	;; [unrolled: 1-line block ×4, first 2 shown]
	v_or_b32_e32 v10, 0x64006400, v10
	v_or_b32_e32 v11, 0x64006400, v11
	;; [unrolled: 1-line block ×30, first 2 shown]
	v_pk_add_f16 v10, v53, v10
	v_pk_fma_f16 v11, v11, s21, v54 op_sel_hi:[1,0,1]
	v_pk_fma_f16 v12, v12, s22, v55 op_sel_hi:[1,0,1]
	v_pk_fma_f16 v13, v13, s23, v56 op_sel_hi:[1,0,1]
	v_pk_add_f16 v14, v57, v14
	v_pk_fma_f16 v15, v15, s21, v58 op_sel_hi:[1,0,1]
	v_pk_fma_f16 v16, v16, s22, v59 op_sel_hi:[1,0,1]
	v_pk_fma_f16 v17, v17, s23, v60 op_sel_hi:[1,0,1]
	;; [unrolled: 4-line block ×4, first 2 shown]
	v_pk_fma_f16 v31, v31, s22, v59 op_sel_hi:[1,0,1]
	v_pk_fma_f16 v1, v1, s23, v60 op_sel_hi:[1,0,1]
	v_pk_add_f16 v32, v61, v32
	v_pk_fma_f16 v33, v33, s21, v62 op_sel_hi:[1,0,1]
	v_pk_fma_f16 v34, v34, s22, v63 op_sel_hi:[1,0,1]
	v_pk_fma_f16 v2, v2, s23, v64 op_sel_hi:[1,0,1]
	v_pk_add_f16 v22, v65, v22
	v_pk_fma_f16 v23, v23, s21, v66 op_sel_hi:[1,0,1]
	;; [unrolled: 4-line block ×3, first 2 shown]
	v_pk_fma_f16 v37, v37, s22, v67 op_sel_hi:[1,0,1]
	v_pk_fma_f16 v3, v3, s23, v68 op_sel_hi:[1,0,1]
	v_pk_mul_f16 v10, v47, v10
	v_pk_mul_f16 v14, v46, v14
	;; [unrolled: 1-line block ×32, first 2 shown]
	v_perm_b32 v28, v14, v10, s9
	v_perm_b32 v29, v22, v18, s9
	v_perm_b32 v34, v14, v10, s11
	v_perm_b32 v35, v22, v18, s11
	v_pack_b32_f16 v32, v11, v15
	v_pack_b32_f16 v33, v19, v23
	v_perm_b32 v30, v15, v11, s9
	v_perm_b32 v31, v23, v19, s9
	v_pack_b32_f16 v26, v12, v16
	v_pack_b32_f16 v27, v20, v69
	v_perm_b32 v24, v16, v12, s9
	v_perm_b32 v25, v69, v20, s9
	;; [unrolled: 4-line block ×7, first 2 shown]
	s_cbranch_vccnz .LBB3_14
; %bb.13:                               ;   in Loop: Header=BB3_12 Depth=2
	v_mov_b32_e32 v36, s43
	ds_read2_b32 v[74:75], v36 offset1:1
	v_perm_b32 v38, v39, v38, s9
	v_perm_b32 v39, v72, v71, s9
	s_waitcnt lgkmcnt(0)
	v_mul_lo_u32 v37, v74, s20
	v_add_u32_e32 v76, v37, v4
	v_mul_lo_u32 v73, v75, s1
	v_ashrrev_i32_e32 v77, 31, v76
	v_add_u32_e32 v74, v73, v7
	v_lshlrev_b64 v[76:77], 1, v[76:77]
	v_add_co_u32_e32 v76, vcc, s6, v76
	v_mov_b32_e32 v73, s7
	v_ashrrev_i32_e32 v75, 31, v74
	v_addc_co_u32_e32 v77, vcc, v73, v77, vcc
	v_lshlrev_b64 v[74:75], 1, v[74:75]
	v_add_co_u32_e32 v74, vcc, s6, v74
	v_addc_co_u32_e32 v75, vcc, v73, v75, vcc
	global_store_dwordx2 v[76:77], v[34:35], off
	global_store_dwordx2 v[74:75], v[28:29], off
	ds_read2_b32 v[74:75], v36 offset0:2 offset1:3
	s_waitcnt lgkmcnt(0)
	v_mul_lo_u32 v37, v74, s20
	v_add_u32_e32 v76, v37, v4
	v_mul_lo_u32 v74, v75, s1
	v_ashrrev_i32_e32 v77, 31, v76
	v_add_u32_e32 v74, v74, v7
	v_lshlrev_b64 v[76:77], 1, v[76:77]
	v_add_co_u32_e32 v76, vcc, s6, v76
	v_ashrrev_i32_e32 v75, 31, v74
	v_addc_co_u32_e32 v77, vcc, v73, v77, vcc
	v_lshlrev_b64 v[74:75], 1, v[74:75]
	v_add_co_u32_e32 v74, vcc, s6, v74
	v_addc_co_u32_e32 v75, vcc, v73, v75, vcc
	global_store_dwordx2 v[76:77], v[32:33], off
	global_store_dwordx2 v[74:75], v[30:31], off
	ds_read2_b32 v[74:75], v36 offset0:4 offset1:5
	s_waitcnt lgkmcnt(0)
	v_mul_lo_u32 v37, v74, s20
	v_add_u32_e32 v76, v37, v4
	v_mul_lo_u32 v74, v75, s1
	v_ashrrev_i32_e32 v77, 31, v76
	v_add_u32_e32 v74, v74, v7
	v_lshlrev_b64 v[76:77], 1, v[76:77]
	v_add_co_u32_e32 v76, vcc, s6, v76
	;; [unrolled: 16-line block ×5, first 2 shown]
	v_ashrrev_i32_e32 v75, 31, v74
	v_addc_co_u32_e32 v77, vcc, v73, v77, vcc
	v_lshlrev_b64 v[74:75], 1, v[74:75]
	v_add_co_u32_e32 v74, vcc, s6, v74
	v_addc_co_u32_e32 v75, vcc, v73, v75, vcc
	global_store_dwordx2 v[76:77], v[14:15], off
	global_store_dwordx2 v[74:75], v[12:13], off
	ds_read2_b32 v[74:75], v36 offset0:12 offset1:13
	s_waitcnt lgkmcnt(0)
	v_mul_lo_u32 v37, v74, s20
	v_add_u32_e32 v76, v37, v4
	v_mul_lo_u32 v74, v75, s1
	v_ashrrev_i32_e32 v77, 31, v76
	ds_read2_b32 v[36:37], v36 offset0:14 offset1:15
	v_add_u32_e32 v74, v74, v7
	v_lshlrev_b64 v[76:77], 1, v[76:77]
	v_add_co_u32_e32 v76, vcc, s6, v76
	v_ashrrev_i32_e32 v75, 31, v74
	v_addc_co_u32_e32 v77, vcc, v73, v77, vcc
	v_lshlrev_b64 v[74:75], 1, v[74:75]
	v_add_co_u32_e32 v74, vcc, s6, v74
	v_addc_co_u32_e32 v75, vcc, v73, v75, vcc
	s_waitcnt lgkmcnt(0)
	v_mul_lo_u32 v36, v36, s1
	global_store_dwordx2 v[76:77], v[10:11], off
	global_store_dwordx2 v[74:75], v[2:3], off
	v_add_u32_e32 v74, v36, v4
	v_ashrrev_i32_e32 v75, 31, v74
	v_lshlrev_b64 v[74:75], 1, v[74:75]
	v_add_co_u32_e32 v74, vcc, s6, v74
	v_addc_co_u32_e32 v75, vcc, v73, v75, vcc
	global_store_dwordx2 v[74:75], v[0:1], off
	s_cbranch_execnz .LBB3_11
	s_branch .LBB3_15
.LBB3_14:                               ;   in Loop: Header=BB3_12 Depth=2
                                        ; implicit-def: $vgpr39
                                        ; implicit-def: $vgpr37
.LBB3_15:                               ;   in Loop: Header=BB3_12 Depth=2
	v_add_u32_e32 v36, s58, v6
	v_ashrrev_i32_e32 v37, 31, v36
	v_lshlrev_b64 v[36:37], 1, v[36:37]
	v_mov_b32_e32 v38, s7
	v_add_co_u32_e32 v36, vcc, s6, v36
	v_addc_co_u32_e32 v37, vcc, v38, v37, vcc
	global_store_dwordx2 v[36:37], v[34:35], off
	v_add_u32_e32 v34, s55, v6
	v_ashrrev_i32_e32 v35, 31, v34
	v_lshlrev_b64 v[34:35], 1, v[34:35]
	v_add_co_u32_e32 v34, vcc, s6, v34
	v_addc_co_u32_e32 v35, vcc, v38, v35, vcc
	global_store_dwordx2 v[34:35], v[28:29], off
	v_add_u32_e32 v28, s57, v6
	v_ashrrev_i32_e32 v29, 31, v28
	v_lshlrev_b64 v[28:29], 1, v[28:29]
	;; [unrolled: 6-line block ×14, first 2 shown]
	v_add_co_u32_e32 v2, vcc, s6, v2
	s_add_i32 s14, s25, s0
	v_addc_co_u32_e32 v3, vcc, v38, v3, vcc
	v_mov_b32_e32 v37, s14
	v_mov_b32_e32 v38, v69
	v_mov_b32_e32 v39, v70
	global_store_dwordx2 v[2:3], v[0:1], off
	s_branch .LBB3_11
.LBB3_16:
	s_endpgm
	.section	.rodata,"a",@progbits
	.p2align	6, 0x0
	.amdhsa_kernel _ZN4vllm4gptq31reconstruct_exllama_2bit_kernelEPKjPKiS2_PK6__halfiiibPS5_
		.amdhsa_group_segment_fixed_size 512
		.amdhsa_private_segment_fixed_size 0
		.amdhsa_kernarg_size 56
		.amdhsa_user_sgpr_count 6
		.amdhsa_user_sgpr_private_segment_buffer 1
		.amdhsa_user_sgpr_dispatch_ptr 0
		.amdhsa_user_sgpr_queue_ptr 0
		.amdhsa_user_sgpr_kernarg_segment_ptr 1
		.amdhsa_user_sgpr_dispatch_id 0
		.amdhsa_user_sgpr_flat_scratch_init 0
		.amdhsa_user_sgpr_kernarg_preload_length 0
		.amdhsa_user_sgpr_kernarg_preload_offset 0
		.amdhsa_user_sgpr_private_segment_size 0
		.amdhsa_uses_dynamic_stack 0
		.amdhsa_system_sgpr_private_segment_wavefront_offset 0
		.amdhsa_system_sgpr_workgroup_id_x 1
		.amdhsa_system_sgpr_workgroup_id_y 1
		.amdhsa_system_sgpr_workgroup_id_z 0
		.amdhsa_system_sgpr_workgroup_info 0
		.amdhsa_system_vgpr_workitem_id 0
		.amdhsa_next_free_vgpr 83
		.amdhsa_next_free_sgpr 59
		.amdhsa_accum_offset 84
		.amdhsa_reserve_vcc 1
		.amdhsa_reserve_flat_scratch 0
		.amdhsa_float_round_mode_32 0
		.amdhsa_float_round_mode_16_64 0
		.amdhsa_float_denorm_mode_32 3
		.amdhsa_float_denorm_mode_16_64 3
		.amdhsa_dx10_clamp 1
		.amdhsa_ieee_mode 1
		.amdhsa_fp16_overflow 0
		.amdhsa_tg_split 0
		.amdhsa_exception_fp_ieee_invalid_op 0
		.amdhsa_exception_fp_denorm_src 0
		.amdhsa_exception_fp_ieee_div_zero 0
		.amdhsa_exception_fp_ieee_overflow 0
		.amdhsa_exception_fp_ieee_underflow 0
		.amdhsa_exception_fp_ieee_inexact 0
		.amdhsa_exception_int_div_zero 0
	.end_amdhsa_kernel
	.text
.Lfunc_end3:
	.size	_ZN4vllm4gptq31reconstruct_exllama_2bit_kernelEPKjPKiS2_PK6__halfiiibPS5_, .Lfunc_end3-_ZN4vllm4gptq31reconstruct_exllama_2bit_kernelEPKjPKiS2_PK6__halfiiibPS5_
                                        ; -- End function
	.section	.AMDGPU.csdata,"",@progbits
; Kernel info:
; codeLenInByte = 4164
; NumSgprs: 63
; NumVgprs: 83
; NumAgprs: 0
; TotalNumVgprs: 83
; ScratchSize: 0
; MemoryBound: 0
; FloatMode: 240
; IeeeMode: 1
; LDSByteSize: 512 bytes/workgroup (compile time only)
; SGPRBlocks: 7
; VGPRBlocks: 10
; NumSGPRsForWavesPerEU: 63
; NumVGPRsForWavesPerEU: 83
; AccumOffset: 84
; Occupancy: 5
; WaveLimiterHint : 0
; COMPUTE_PGM_RSRC2:SCRATCH_EN: 0
; COMPUTE_PGM_RSRC2:USER_SGPR: 6
; COMPUTE_PGM_RSRC2:TRAP_HANDLER: 0
; COMPUTE_PGM_RSRC2:TGID_X_EN: 1
; COMPUTE_PGM_RSRC2:TGID_Y_EN: 1
; COMPUTE_PGM_RSRC2:TGID_Z_EN: 0
; COMPUTE_PGM_RSRC2:TIDIG_COMP_CNT: 0
; COMPUTE_PGM_RSRC3_GFX90A:ACCUM_OFFSET: 20
; COMPUTE_PGM_RSRC3_GFX90A:TG_SPLIT: 0
	.text
	.protected	_ZN4vllm4gptq32gemm_half_q_half_alt_4bit_kernelEPK7__half2PKjP6__halfPKS6_S5_PKiiiib ; -- Begin function _ZN4vllm4gptq32gemm_half_q_half_alt_4bit_kernelEPK7__half2PKjP6__halfPKS6_S5_PKiiiib
	.globl	_ZN4vllm4gptq32gemm_half_q_half_alt_4bit_kernelEPK7__half2PKjP6__halfPKS6_S5_PKiiiib
	.p2align	8
	.type	_ZN4vllm4gptq32gemm_half_q_half_alt_4bit_kernelEPK7__half2PKjP6__halfPKS6_S5_PKiiiib,@function
_ZN4vllm4gptq32gemm_half_q_half_alt_4bit_kernelEPK7__half2PKjP6__halfPKS6_S5_PKiiiib: ; @_ZN4vllm4gptq32gemm_half_q_half_alt_4bit_kernelEPK7__half2PKjP6__halfPKS6_S5_PKiiiib
; %bb.0:
	s_load_dwordx4 s[20:23], s[6:7], 0x30
	s_load_dwordx2 s[24:25], s[6:7], 0x28
	s_load_dwordx8 s[12:19], s[6:7], 0x8
	s_lshl_b32 s30, s9, 3
	v_and_b32_e32 v4, 0x3ff, v0
	s_waitcnt lgkmcnt(0)
	s_sub_i32 s0, s20, s30
	v_cvt_f64_u32_e32 v[2:3], s0
	s_mov_b32 s0, 0
	s_mov_b32 s1, 0x40200000
	v_min_f64 v[2:3], v[2:3], s[0:1]
	s_lshl_b32 s0, s10, 4
	s_and_b32 s33, s0, 0x1ffffff0
	s_sub_i32 s0, s21, s33
	v_cvt_i32_f64_e32 v1, v[2:3]
	v_cvt_f64_u32_e32 v[2:3], s0
	s_mov_b32 s0, 0
	s_mov_b32 s1, 0x40300000
	v_min_f64 v[2:3], v[2:3], s[0:1]
	v_readfirstlane_b32 s20, v1
	v_mul_f64 v[2:3], v[2:3], 4.0
	v_cvt_i32_f64_e32 v1, v[2:3]
	s_cmp_gt_i32 s20, 0
	v_cmp_lt_u32_e32 vcc, v4, v1
	s_cselect_b64 s[0:1], -1, 0
	v_readfirstlane_b32 s31, v1
	s_and_b64 s[26:27], vcc, s[0:1]
	s_and_saveexec_b64 s[2:3], s[26:27]
	s_cbranch_execz .LBB4_15
; %bb.1:
	s_load_dwordx2 s[6:7], s[6:7], 0x0
	s_lshl_b32 s10, s10, 6
	s_lshl_b32 s34, s21, 2
	s_and_b32 s35, s10, 0x7fffffc0
	s_cmp_lt_u32 s20, 24
	s_cselect_b64 s[26:27], -1, 0
	s_and_b64 vcc, exec, s[26:27]
	s_cbranch_vccnz .LBB4_11
; %bb.2:
	s_add_i32 s26, s20, -1
	s_sub_i32 s27, 0, s34
	s_cmp_gt_i32 s34, -1
	s_cselect_b64 s[10:11], -1, 0
	v_add_u32_e32 v1, s35, v4
	s_mul_i32 s9, s9, s21
	v_cndmask_b32_e64 v3, 0, -1, s[10:11]
	s_and_b64 s[10:11], s[10:11], exec
	v_lshl_add_u32 v2, s9, 5, v1
	s_cselect_b32 s9, s34, s27
	s_mul_i32 s27, s9, s26
	s_mul_hi_u32 s9, s9, s26
	s_cmp_eq_u32 s9, 0
	v_xor_b32_e32 v2, v2, v3
	s_cselect_b64 s[10:11], -1, 0
	v_cmp_le_u32_e32 vcc, s27, v2
	s_mov_b32 s28, 0
	s_and_b64 s[36:37], vcc, s[10:11]
	s_mov_b64 s[26:27], -1
	v_mov_b32_e32 v3, 0
	s_and_saveexec_b64 s[10:11], s[36:37]
	s_cbranch_execz .LBB4_12
; %bb.3:
	s_add_i32 s26, s20, -2
	s_lshr_b32 s9, s26, 1
	s_mov_b32 s29, 1
	s_add_i32 s9, s9, 1
	s_cmp_lt_u32 s26, 6
	s_mov_b64 s[26:27], s[28:29]
	s_cbranch_scc1 .LBB4_7
; %bb.4:
	v_mov_b32_e32 v2, 0x2000
	s_and_b32 s27, s9, -4
	v_lshl_or_b32 v5, v4, 2, v2
	s_waitcnt lgkmcnt(0)
	v_mov_b32_e32 v6, s7
	v_mov_b32_e32 v3, 0
	s_mov_b32 s26, s28
.LBB4_5:                                ; =>This Inner Loop Header: Depth=1
	s_add_i32 s37, s26, s30
	s_mul_i32 s38, s34, s37
	s_add_i32 s36, s29, s30
	v_add_u32_e32 v2, s38, v1
	s_mul_i32 s39, s34, s36
	v_lshlrev_b64 v[16:17], 2, v[2:3]
	v_mov_b32_e32 v9, v3
	s_add_i32 s41, s37, 2
	v_add_u32_e32 v8, s39, v1
	v_add_co_u32_e32 v16, vcc, s6, v16
	s_mul_i32 s38, s34, s41
	v_lshlrev_b64 v[8:9], 2, v[8:9]
	v_addc_co_u32_e32 v17, vcc, v6, v17, vcc
	s_add_i32 s40, s36, 2
	v_add_u32_e32 v2, s38, v1
	v_add_co_u32_e32 v8, vcc, s6, v8
	s_mul_i32 s39, s34, s40
	v_addc_co_u32_e32 v9, vcc, v6, v9, vcc
	v_lshlrev_b64 v[18:19], 2, v[2:3]
	v_mov_b32_e32 v11, v3
	s_add_i32 s42, s36, 4
	v_add_u32_e32 v10, s39, v1
	v_add_co_u32_e32 v18, vcc, s6, v18
	s_mul_i32 s41, s34, s42
	v_lshlrev_b64 v[10:11], 2, v[10:11]
	v_addc_co_u32_e32 v19, vcc, v6, v19, vcc
	v_mov_b32_e32 v13, v3
	s_add_i32 s36, s36, 6
	v_add_u32_e32 v12, s41, v1
	v_add_co_u32_e32 v10, vcc, s6, v10
	s_mul_i32 s36, s34, s36
	v_lshlrev_b64 v[12:13], 2, v[12:13]
	v_addc_co_u32_e32 v11, vcc, v6, v11, vcc
	;; [unrolled: 7-line block ×3, first 2 shown]
	s_add_i32 s37, s37, 6
	v_add_u32_e32 v2, s40, v1
	v_add_co_u32_e32 v14, vcc, s6, v14
	s_mul_i32 s37, s34, s37
	v_lshlrev_b64 v[20:21], 2, v[2:3]
	v_addc_co_u32_e32 v15, vcc, v6, v15, vcc
	v_add_u32_e32 v2, s37, v1
	global_load_dword v7, v[16:17], off
	global_load_dword v22, v[8:9], off
	;; [unrolled: 1-line block ×4, first 2 shown]
	v_add_co_u32_e32 v8, vcc, s6, v20
	v_addc_co_u32_e32 v9, vcc, v6, v21, vcc
	v_lshlrev_b64 v[10:11], 2, v[2:3]
	v_add_co_u32_e32 v10, vcc, s6, v10
	v_addc_co_u32_e32 v11, vcc, v6, v11, vcc
	global_load_dword v2, v[8:9], off
	global_load_dword v16, v[12:13], off
	global_load_dword v17, v[10:11], off
	global_load_dword v18, v[14:15], off
	s_add_i32 s28, s28, 8
	s_add_i32 s29, s29, 8
	;; [unrolled: 1-line block ×3, first 2 shown]
	s_add_i32 s27, s27, -4
	s_cmp_lg_u32 s27, 0
	s_waitcnt vmcnt(6)
	ds_write2st64_b32 v5, v7, v22 offset1:1
	s_waitcnt vmcnt(4)
	ds_write2st64_b32 v5, v23, v24 offset0:2 offset1:3
	s_waitcnt vmcnt(2)
	ds_write2st64_b32 v5, v2, v16 offset0:4 offset1:5
	s_waitcnt vmcnt(0)
	ds_write2st64_b32 v5, v17, v18 offset0:6 offset1:7
	v_add_u32_e32 v5, 0x800, v5
	s_cbranch_scc1 .LBB4_5
; %bb.6:
	s_mov_b32 s27, s29
.LBB4_7:
	s_and_b32 s9, s9, 3
	s_cmp_eq_u32 s9, 0
	s_cbranch_scc1 .LBB4_10
; %bb.8:
	v_lshlrev_b32_e32 v2, 2, v4
	v_lshl_add_u32 v2, s28, 8, v2
	v_add_u32_e32 v5, 0x2000, v2
	s_waitcnt lgkmcnt(0)
	v_mov_b32_e32 v6, s7
	v_mov_b32_e32 v3, 0
.LBB4_9:                                ; =>This Inner Loop Header: Depth=1
	s_add_i32 s29, s26, s30
	s_mul_i32 s29, s34, s29
	s_add_i32 s28, s27, s30
	v_add_u32_e32 v2, s29, v1
	s_mul_i32 s28, s34, s28
	v_lshlrev_b64 v[10:11], 2, v[2:3]
	v_mov_b32_e32 v9, v3
	v_add_u32_e32 v8, s28, v1
	v_add_co_u32_e32 v10, vcc, s6, v10
	v_lshlrev_b64 v[8:9], 2, v[8:9]
	v_addc_co_u32_e32 v11, vcc, v6, v11, vcc
	v_add_co_u32_e32 v8, vcc, s6, v8
	v_addc_co_u32_e32 v9, vcc, v6, v9, vcc
	global_load_dword v2, v[10:11], off
	global_load_dword v7, v[8:9], off
	s_add_i32 s27, s27, 2
	s_add_i32 s26, s26, 2
	s_add_i32 s9, s9, -1
	s_cmp_lg_u32 s9, 0
	s_waitcnt vmcnt(0)
	ds_write2st64_b32 v5, v2, v7 offset1:1
	v_add_u32_e32 v5, 0x200, v5
	s_cbranch_scc1 .LBB4_9
.LBB4_10:
	s_and_b32 s9, s20, 0x7ffffffe
	s_cmp_lg_u32 s9, s20
	s_cselect_b64 s[26:27], -1, 0
	v_mov_b32_e32 v3, s9
	s_orn2_b64 s[26:27], s[26:27], exec
	s_or_b64 exec, exec, s[10:11]
	s_and_b64 exec, exec, s[26:27]
	s_cbranch_execnz .LBB4_13
	s_branch .LBB4_15
.LBB4_11:
	v_mov_b32_e32 v3, 0
	s_and_b64 exec, exec, s[26:27]
	s_cbranch_execnz .LBB4_13
	s_branch .LBB4_15
.LBB4_12:
	s_or_b64 exec, exec, s[10:11]
	s_and_b64 exec, exec, s[26:27]
	s_cbranch_execz .LBB4_15
.LBB4_13:
	v_add_u32_e32 v2, s30, v3
	v_mul_lo_u32 v2, s21, v2
	v_sub_u32_e32 v1, s20, v3
	v_lshlrev_b32_e32 v2, 2, v2
	v_lshlrev_b32_e32 v3, 8, v3
	;; [unrolled: 1-line block ×3, first 2 shown]
	s_movk_i32 s9, 0x2000
	v_add3_u32 v2, v4, v2, s35
	v_add3_u32 v5, v3, v5, s9
	s_mov_b64 s[10:11], 0
	v_mov_b32_e32 v3, 0
	s_waitcnt lgkmcnt(0)
	v_mov_b32_e32 v6, s7
.LBB4_14:                               ; =>This Inner Loop Header: Depth=1
	v_lshlrev_b64 v[8:9], 2, v[2:3]
	v_add_co_u32_e32 v8, vcc, s6, v8
	v_addc_co_u32_e32 v9, vcc, v6, v9, vcc
	global_load_dword v7, v[8:9], off
	v_add_u32_e32 v1, -1, v1
	v_cmp_eq_u32_e32 vcc, 0, v1
	v_add_u32_e32 v2, s34, v2
	s_or_b64 s[10:11], vcc, s[10:11]
	s_waitcnt vmcnt(0)
	ds_write_b32 v5, v7
	v_add_u32_e32 v5, 0x100, v5
	s_andn2_b64 exec, exec, s[10:11]
	s_cbranch_execnz .LBB4_14
.LBB4_15:
	s_or_b64 exec, exec, s[2:3]
	v_bfe_u32 v1, v4, 3, 4
	v_cvt_f32_ubyte0_e32 v1, v1
	v_cvt_f16_f32_e32 v1, v1
	v_and_b32_e32 v5, 7, v4
	v_lshrrev_b32_e32 v6, 3, v4
	v_lshlrev_b32_e32 v8, 2, v5
	v_add_u32_e32 v2, -16, v6
	v_lshrrev_b32_e32 v3, 7, v4
	v_lshl_or_b32 v5, v6, 5, v8
	s_mov_b64 s[2:3], 0
	s_waitcnt lgkmcnt(0)
	s_mov_b32 s6, 0x5040100
	s_movk_i32 s7, 0xef
.LBB4_16:                               ; =>This Inner Loop Header: Depth=1
	v_cvt_f32_u32_e32 v6, v3
	v_add_u32_e32 v2, 16, v2
	v_cmp_lt_u32_e32 vcc, s7, v2
	v_add_u32_e32 v3, 1, v3
	v_cvt_f16_f32_e32 v6, v6
	s_or_b64 s[2:3], vcc, s[2:3]
	v_perm_b32 v6, v6, v1, s6
	ds_write_b32 v5, v6
	v_add_u32_e32 v5, 0x200, v5
	s_andn2_b64 exec, exec, s[2:3]
	s_cbranch_execnz .LBB4_16
; %bb.17:
	s_or_b64 exec, exec, s[2:3]
	s_load_dwordx2 s[2:3], s[4:5], 0x4
	v_bfe_u32 v1, v0, 10, 10
	v_bfe_u32 v0, v0, 20, 10
	s_waitcnt lgkmcnt(0)
	s_barrier
	s_lshr_b32 s2, s2, 16
	s_mul_i32 s2, s2, s3
	v_mul_lo_u32 v2, s2, v4
	v_mad_u32_u24 v1, v1, s3, v2
	v_add_lshl_u32 v5, v1, v0, 4
	v_mov_b32_e32 v1, 0
	v_mov_b32_e32 v0, v1
	v_mov_b32_e32 v2, v1
	v_mov_b32_e32 v3, v1
	ds_write_b128 v5, v[0:3] offset:10240
	v_cndmask_b32_e64 v0, 0, 1, s[0:1]
	v_lshl_add_u32 v6, s8, 7, v4
	v_add_u32_e32 v7, 0x2800, v5
	s_mov_b32 s10, 0
	s_cmp_lt_i32 s31, 1
	v_cmp_ne_u32_e64 s[0:1], 1, v0
	s_cbranch_scc1 .LBB4_26
; %bb.18:
	s_ashr_i32 s2, s22, 31
	s_lshr_b32 s2, s2, 29
	s_add_i32 s2, s22, s2
	s_ashr_i32 s21, s2, 3
	s_and_b32 s2, s23, 1
	s_lshl_b32 s11, s33, 3
	s_add_i32 s23, s2, -1
	s_cmp_lg_u32 s20, 1
	v_lshlrev_b32_e32 v0, 2, v4
	s_cselect_b64 s[2:3], -1, 0
	s_and_b32 s27, s20, 0x7ffffffe
	v_and_b32_e32 v2, 28, v0
	s_mul_i32 s33, s33, s22
	s_bitcmp1_b32 s20, 0
	v_cndmask_b32_e64 v0, 0, 1, s[2:3]
	v_lshrrev_b32_e32 v9, 3, v6
	v_add_u32_e32 v4, s33, v6
	s_mov_b32 s26, s23
	v_mov_b32_e32 v3, v2
	s_cselect_b64 s[8:9], -1, 0
	s_ashr_i32 s28, s11, 31
	s_movk_i32 s29, 0x2000
	s_mov_b32 s33, 0x5040100
	v_cmp_ne_u32_e64 s[2:3], 1, v0
	s_mov_b32 s34, 0xffff
	s_branch .LBB4_20
.LBB4_19:                               ;   in Loop: Header=BB4_20 Depth=1
	s_add_i32 s10, s10, 4
	s_add_i32 s29, s29, 16
	s_cmp_ge_i32 s10, s31
	v_add_u32_e32 v4, s22, v4
	s_cbranch_scc1 .LBB4_26
.LBB4_20:                               ; =>This Loop Header: Depth=1
                                        ;     Child Loop BB4_23 Depth 2
	s_and_b64 vcc, exec, s[0:1]
	s_cbranch_vccnz .LBB4_19
; %bb.21:                               ;   in Loop: Header=BB4_20 Depth=1
	s_lshl_b32 s35, s10, 1
	s_ashr_i32 s5, s35, 31
	s_add_u32 s4, s35, s11
	s_addc_u32 s5, s5, s28
	s_lshl_b64 s[4:5], s[4:5], 2
	s_add_u32 s36, s24, s4
	s_addc_u32 s37, s25, s5
	s_load_dwordx2 s[38:39], s[36:37], 0x18
	s_load_dwordx4 s[4:7], s[36:37], 0x8
	v_mov_b32_e32 v5, s17
	v_mov_b32_e32 v13, s19
	s_waitcnt lgkmcnt(0)
	s_mul_i32 s36, s38, s22
	v_add_u32_e32 v0, s36, v6
	v_lshlrev_b64 v[10:11], 1, v[0:1]
	v_add_co_u32_e32 v10, vcc, s16, v10
	v_addc_co_u32_e32 v11, vcc, v5, v11, vcc
	s_mul_i32 s36, s38, s21
	global_load_ushort v12, v[10:11], off
	v_add_u32_e32 v10, s36, v9
	v_ashrrev_i32_e32 v11, 31, v10
	v_lshlrev_b64 v[10:11], 2, v[10:11]
	v_add_co_u32_e32 v10, vcc, s18, v10
	s_mul_i32 s36, s39, s22
	v_addc_co_u32_e32 v11, vcc, v13, v11, vcc
	v_add_u32_e32 v0, s36, v6
	global_load_dword v14, v[10:11], off
	v_lshlrev_b64 v[10:11], 1, v[0:1]
	v_add_co_u32_e32 v10, vcc, s16, v10
	v_addc_co_u32_e32 v11, vcc, v5, v11, vcc
	s_mul_i32 s36, s39, s21
	global_load_ushort v15, v[10:11], off
	v_add_u32_e32 v10, s36, v9
	v_ashrrev_i32_e32 v11, 31, v10
	v_lshlrev_b64 v[10:11], 2, v[10:11]
	v_add_co_u32_e32 v10, vcc, s18, v10
	s_mul_i32 s36, s6, s22
	v_addc_co_u32_e32 v11, vcc, v13, v11, vcc
	v_add_u32_e32 v0, s36, v6
	global_load_dword v16, v[10:11], off
	v_lshlrev_b64 v[10:11], 1, v[0:1]
	v_add_co_u32_e32 v10, vcc, s16, v10
	v_addc_co_u32_e32 v11, vcc, v5, v11, vcc
	s_mul_i32 s6, s6, s21
	global_load_ushort v17, v[10:11], off
	v_add_u32_e32 v10, s6, v9
	v_ashrrev_i32_e32 v11, 31, v10
	v_lshlrev_b64 v[10:11], 2, v[10:11]
	v_add_co_u32_e32 v10, vcc, s18, v10
	s_mul_i32 s6, s7, s22
	v_addc_co_u32_e32 v11, vcc, v13, v11, vcc
	v_add_u32_e32 v0, s6, v6
	global_load_dword v18, v[10:11], off
	v_lshlrev_b64 v[10:11], 1, v[0:1]
	v_add_co_u32_e32 v10, vcc, s16, v10
	v_addc_co_u32_e32 v11, vcc, v5, v11, vcc
	s_mul_i32 s6, s7, s21
	global_load_ushort v19, v[10:11], off
	v_add_u32_e32 v10, s6, v9
	v_ashrrev_i32_e32 v11, 31, v10
	v_lshlrev_b64 v[10:11], 2, v[10:11]
	v_add_co_u32_e32 v10, vcc, s18, v10
	s_mul_i32 s6, s4, s22
	v_addc_co_u32_e32 v11, vcc, v13, v11, vcc
	v_add_u32_e32 v0, s6, v6
	global_load_dword v20, v[10:11], off
	v_lshlrev_b64 v[10:11], 1, v[0:1]
	v_add_co_u32_e32 v10, vcc, s16, v10
	v_addc_co_u32_e32 v11, vcc, v5, v11, vcc
	s_mul_i32 s4, s4, s21
	global_load_ushort v21, v[10:11], off
	v_add_u32_e32 v10, s4, v9
	v_ashrrev_i32_e32 v11, 31, v10
	v_lshlrev_b64 v[10:11], 2, v[10:11]
	v_add_co_u32_e32 v10, vcc, s18, v10
	s_mul_i32 s4, s5, s22
	v_addc_co_u32_e32 v11, vcc, v13, v11, vcc
	v_add_u32_e32 v0, s4, v6
	global_load_dword v22, v[10:11], off
	v_lshlrev_b64 v[10:11], 1, v[0:1]
	v_add_co_u32_e32 v10, vcc, s16, v10
	v_addc_co_u32_e32 v11, vcc, v5, v11, vcc
	s_mul_i32 s4, s5, s21
	global_load_ushort v23, v[10:11], off
	v_add_u32_e32 v10, s4, v9
	s_add_i32 s4, s35, s11
	s_ashr_i32 s5, s4, 31
	s_lshl_b64 s[4:5], s[4:5], 2
	s_add_u32 s4, s24, s4
	s_addc_u32 s5, s25, s5
	s_load_dwordx2 s[4:5], s[4:5], 0x0
	v_ashrrev_i32_e32 v11, 31, v10
	v_lshlrev_b64 v[10:11], 2, v[10:11]
	v_add_co_u32_e32 v10, vcc, s18, v10
	s_waitcnt lgkmcnt(0)
	s_mul_i32 s6, s4, s22
	v_addc_co_u32_e32 v11, vcc, v13, v11, vcc
	v_add_u32_e32 v0, s6, v6
	global_load_dword v24, v[10:11], off
	v_lshlrev_b64 v[10:11], 1, v[0:1]
	v_add_co_u32_e32 v10, vcc, s16, v10
	v_addc_co_u32_e32 v11, vcc, v5, v11, vcc
	s_mul_i32 s4, s4, s21
	global_load_ushort v25, v[10:11], off
	v_add_u32_e32 v10, s4, v9
	v_ashrrev_i32_e32 v11, 31, v10
	v_lshlrev_b64 v[10:11], 2, v[10:11]
	v_add_co_u32_e32 v10, vcc, s18, v10
	s_mul_i32 s4, s5, s22
	v_addc_co_u32_e32 v11, vcc, v13, v11, vcc
	v_add_u32_e32 v0, s4, v6
	s_mul_i32 s4, s5, s21
	global_load_dword v26, v[10:11], off
	v_add_u32_e32 v10, s4, v9
	v_ashrrev_i32_e32 v11, 31, v10
	v_lshlrev_b64 v[10:11], 2, v[10:11]
	v_add_co_u32_e32 v10, vcc, s18, v10
	v_addc_co_u32_e32 v11, vcc, v13, v11, vcc
	global_load_dword v13, v[10:11], off
	v_lshlrev_b64 v[10:11], 1, v[0:1]
	v_add_co_u32_e32 v10, vcc, s16, v10
	v_addc_co_u32_e32 v11, vcc, v5, v11, vcc
	v_ashrrev_i32_e32 v5, 31, v4
	global_load_ushort v0, v[10:11], off
	v_lshlrev_b64 v[10:11], 2, v[4:5]
	v_mov_b32_e32 v5, s13
	v_add_co_u32_e32 v10, vcc, s12, v10
	v_addc_co_u32_e32 v11, vcc, v5, v11, vcc
	global_load_dword v5, v[10:11], off
	s_waitcnt vmcnt(13)
	v_bfe_u32 v10, v16, v3, 4
	v_bfe_u32 v11, v14, v2, 4
	v_sub_u32_e32 v10, s26, v10
	v_sub_u32_e32 v11, s23, v11
	s_waitcnt vmcnt(9)
	v_bfe_u32 v14, v20, v3, 4
	v_bfe_u32 v16, v18, v2, 4
	v_cvt_f32_i32_e32 v10, v10
	v_cvt_f32_i32_e32 v11, v11
	v_sub_u32_e32 v16, s23, v16
	v_sub_u32_e32 v14, s26, v14
	v_cvt_f32_i32_e32 v14, v14
	v_cvt_f32_i32_e32 v16, v16
	v_cvt_f16_f32_e32 v10, v10
	v_cvt_f16_f32_e32 v11, v11
	v_perm_b32 v12, v15, v12, s33
	v_cvt_f16_f32_e32 v14, v14
	v_cvt_f16_f32_e32 v15, v16
	v_pack_b32_f16 v10, v11, v10
	v_pk_mul_f16 v16, v12, v10
	v_perm_b32 v17, v19, v17, s33
	v_pack_b32_f16 v10, v15, v14
	v_pk_mul_f16 v14, v17, v10
	s_waitcnt vmcnt(7)
	v_bfe_u32 v10, v22, v2, 4
	v_sub_u32_e32 v10, s23, v10
	v_cvt_f32_i32_e32 v10, v10
	s_waitcnt vmcnt(6)
	v_perm_b32 v18, v23, v21, s33
	s_and_b64 vcc, exec, s[2:3]
	s_mov_b32 s6, 0
	v_cvt_f16_f32_e32 v10, v10
	s_waitcnt vmcnt(5)
	v_bfe_u32 v11, v24, v3, 4
	v_sub_u32_e32 v11, s26, v11
	v_cvt_f32_i32_e32 v11, v11
	v_cvt_f16_f32_e32 v11, v11
	v_pack_b32_f16 v10, v10, v11
	v_pk_mul_f16 v10, v18, v10
	s_waitcnt vmcnt(3)
	v_bfe_u32 v15, v26, v2, 4
	v_sub_u32_e32 v15, s23, v15
	v_cvt_f32_i32_e32 v15, v15
	v_cvt_f16_f32_e32 v15, v15
	s_waitcnt vmcnt(2)
	v_bfe_u32 v13, v13, v3, 4
	v_sub_u32_e32 v13, s26, v13
	v_cvt_f32_i32_e32 v13, v13
	v_cvt_f16_f32_e32 v13, v13
	s_waitcnt vmcnt(1)
	v_perm_b32 v0, v0, v25, s33
	v_pack_b32_f16 v11, v15, v13
	s_waitcnt vmcnt(0)
	v_and_b32_e32 v13, 0xff, v5
	v_bfe_u32 v15, v5, 8, 8
	v_bfe_u32 v19, v5, 16, 8
	v_lshl_or_b32 v13, v13, 5, v8
	v_lshl_or_b32 v15, v15, 5, v8
	;; [unrolled: 1-line block ×3, first 2 shown]
	v_lshrrev_b32_e32 v5, 24, v5
	v_lshl_or_b32 v5, v5, 5, v8
	ds_read_b32 v13, v13
	ds_read_b32 v15, v15
	;; [unrolled: 1-line block ×4, first 2 shown]
	v_pk_mul_f16 v5, v0, v11
	s_waitcnt lgkmcnt(3)
	v_pk_fma_f16 v11, v13, v0, v5
	s_waitcnt lgkmcnt(2)
	v_pk_fma_f16 v10, v15, v18, v10
	;; [unrolled: 2-line block ×4, first 2 shown]
	s_cbranch_vccnz .LBB4_24
; %bb.22:                               ;   in Loop: Header=BB4_20 Depth=1
	s_mov_b32 s4, 0
	v_mov_b32_e32 v12, v7
	s_mov_b32 s5, s29
.LBB4_23:                               ;   Parent Loop BB4_20 Depth=1
                                        ; =>  This Inner Loop Header: Depth=2
	v_mov_b32_e32 v13, s5
	ds_read_b32 v22, v12
	ds_read_b128 v[14:17], v13
	ds_read_b128 v[18:21], v13 offset:256
	s_add_i32 s4, s4, 2
	s_addk_i32 s5, 0x200
	s_mov_b32 s6, s27
	s_waitcnt lgkmcnt(1)
	v_pk_fma_f16 v13, v11, v14, 0
	s_waitcnt lgkmcnt(0)
	v_pk_fma_f16 v14, v11, v18, 0
	v_and_b32_e32 v18, 0xffff0000, v13
	v_and_b32_e32 v23, 0xffff0000, v14
	v_and_or_b32 v13, v13, s34, v18
	v_and_or_b32 v14, v14, s34, v23
	v_pk_fma_f16 v13, v10, v15, v13
	v_pk_fma_f16 v14, v10, v19, v14
	v_and_b32_e32 v15, 0xffff0000, v13
	v_and_b32_e32 v18, 0xffff0000, v14
	v_and_or_b32 v13, v13, s34, v15
	v_and_or_b32 v14, v14, s34, v18
	v_pk_fma_f16 v13, v5, v16, v13
	;; [unrolled: 6-line block ×3, first 2 shown]
	v_pk_fma_f16 v14, v0, v21, v14
	v_cvt_u16_f16_e32 v15, v13
	v_cvt_u16_f16_sdwa v13, v13 dst_sel:DWORD dst_unused:UNUSED_PAD src0_sel:WORD_1
	v_cvt_u16_f16_e32 v16, v14
	v_cvt_u16_f16_sdwa v14, v14 dst_sel:DWORD dst_unused:UNUSED_PAD src0_sel:WORD_1
	v_add_f16_e32 v13, v15, v13
	v_add_f16_e32 v14, v16, v14
	;; [unrolled: 1-line block ×3, first 2 shown]
	v_add_f16_sdwa v14, v22, v14 dst_sel:DWORD dst_unused:UNUSED_PAD src0_sel:WORD_1 src1_sel:DWORD
	v_pack_b32_f16 v13, v13, v14
	s_cmp_eq_u32 s27, s4
	ds_write_b32 v12, v13
	v_add_u32_e32 v12, 4, v12
	s_cbranch_scc0 .LBB4_23
.LBB4_24:                               ;   in Loop: Header=BB4_20 Depth=1
	s_andn2_b64 vcc, exec, s[8:9]
	s_cbranch_vccnz .LBB4_19
; %bb.25:                               ;   in Loop: Header=BB4_20 Depth=1
	s_lshl_b32 s4, s10, 2
	s_lshl_b32 s5, s6, 8
	s_add_i32 s4, s5, s4
	v_mov_b32_e32 v12, s4
	ds_read_b128 v[12:15], v12 offset:8192
	v_lshl_add_u32 v16, s6, 1, v7
	ds_read_u16 v17, v16
	s_waitcnt lgkmcnt(1)
	v_pk_fma_f16 v11, v11, v12, 0
	v_and_b32_e32 v12, 0xffff0000, v11
	v_and_or_b32 v11, v11, s34, v12
	v_pk_fma_f16 v10, v10, v13, v11
	v_and_b32_e32 v11, 0xffff0000, v10
	v_and_or_b32 v10, v10, s34, v11
	;; [unrolled: 3-line block ×3, first 2 shown]
	v_pk_fma_f16 v0, v0, v15, v5
	v_cvt_u16_f16_e32 v5, v0
	v_cvt_u16_f16_sdwa v0, v0 dst_sel:DWORD dst_unused:UNUSED_PAD src0_sel:WORD_1
	v_add_f16_e32 v0, v5, v0
	s_waitcnt lgkmcnt(0)
	v_add_f16_e32 v0, v17, v0
	ds_write_b16 v16, v0
	s_branch .LBB4_19
.LBB4_26:
	s_and_b64 vcc, exec, s[0:1]
	s_cbranch_vccnz .LBB4_35
; %bb.27:
	s_mov_b32 s6, 0
	v_mov_b32_e32 v1, 0
	v_mov_b32_e32 v8, s15
	s_mov_b32 s7, 0xffff0000
	s_branch .LBB4_29
.LBB4_28:                               ;   in Loop: Header=BB4_29 Depth=1
	s_or_b64 exec, exec, s[4:5]
	s_add_i32 s6, s6, 1
	s_cmp_eq_u32 s6, s20
	s_cbranch_scc1 .LBB4_35
.LBB4_29:                               ; =>This Loop Header: Depth=1
                                        ;     Child Loop BB4_31 Depth 2
	s_add_i32 s0, s6, s30
	s_mul_i32 s0, s0, s22
	v_add_u32_e32 v0, s0, v6
	v_lshlrev_b64 v[2:3], 1, v[0:1]
	v_add_co_u32_e32 v0, vcc, s14, v2
	v_addc_co_u32_e32 v3, vcc, v8, v3, vcc
	v_and_b32_e32 v2, -3, v0
	global_load_dword v5, v[2:3], off
	v_lshl_add_u32 v4, s6, 1, v7
	ds_read_u16 v9, v4
	v_and_b32_e32 v0, 2, v0
	s_mov_b64 s[4:5], 0
	v_cmp_eq_u64_e32 vcc, 0, v[0:1]
	v_cmp_ne_u32_e64 s[0:1], 0, v0
	s_branch .LBB4_31
.LBB4_30:                               ;   in Loop: Header=BB4_31 Depth=2
	s_or_b64 exec, exec, s[2:3]
	global_atomic_cmpswap v0, v[2:3], v[4:5], off glc
	s_waitcnt vmcnt(0)
	v_cmp_eq_u32_e64 s[2:3], v5, v0
	s_or_b64 s[4:5], s[2:3], s[4:5]
	v_mov_b32_e32 v5, v0
	s_andn2_b64 exec, exec, s[4:5]
	s_cbranch_execz .LBB4_28
.LBB4_31:                               ;   Parent Loop BB4_29 Depth=1
                                        ; =>  This Inner Loop Header: Depth=2
	s_waitcnt vmcnt(0)
	v_lshrrev_b32_e32 v0, 16, v5
	v_cndmask_b32_e32 v0, v0, v5, vcc
	s_waitcnt lgkmcnt(0)
	v_add_f16_e32 v0, v9, v0
	s_and_saveexec_b64 s[2:3], s[0:1]
	s_xor_b64 s[2:3], exec, s[2:3]
; %bb.32:                               ;   in Loop: Header=BB4_31 Depth=2
	v_and_b32_e32 v4, 0xffff, v5
	v_lshl_or_b32 v4, v0, 16, v4
                                        ; implicit-def: $vgpr0
; %bb.33:                               ;   in Loop: Header=BB4_31 Depth=2
	s_andn2_saveexec_b64 s[2:3], s[2:3]
	s_cbranch_execz .LBB4_30
; %bb.34:                               ;   in Loop: Header=BB4_31 Depth=2
	v_and_or_b32 v4, v5, s7, v0
	s_branch .LBB4_30
.LBB4_35:
	s_endpgm
	.section	.rodata,"a",@progbits
	.p2align	6, 0x0
	.amdhsa_kernel _ZN4vllm4gptq32gemm_half_q_half_alt_4bit_kernelEPK7__half2PKjP6__halfPKS6_S5_PKiiiib
		.amdhsa_group_segment_fixed_size 26624
		.amdhsa_private_segment_fixed_size 0
		.amdhsa_kernarg_size 64
		.amdhsa_user_sgpr_count 8
		.amdhsa_user_sgpr_private_segment_buffer 1
		.amdhsa_user_sgpr_dispatch_ptr 1
		.amdhsa_user_sgpr_queue_ptr 0
		.amdhsa_user_sgpr_kernarg_segment_ptr 1
		.amdhsa_user_sgpr_dispatch_id 0
		.amdhsa_user_sgpr_flat_scratch_init 0
		.amdhsa_user_sgpr_kernarg_preload_length 0
		.amdhsa_user_sgpr_kernarg_preload_offset 0
		.amdhsa_user_sgpr_private_segment_size 0
		.amdhsa_uses_dynamic_stack 0
		.amdhsa_system_sgpr_private_segment_wavefront_offset 0
		.amdhsa_system_sgpr_workgroup_id_x 1
		.amdhsa_system_sgpr_workgroup_id_y 1
		.amdhsa_system_sgpr_workgroup_id_z 1
		.amdhsa_system_sgpr_workgroup_info 0
		.amdhsa_system_vgpr_workitem_id 2
		.amdhsa_next_free_vgpr 27
		.amdhsa_next_free_sgpr 44
		.amdhsa_accum_offset 28
		.amdhsa_reserve_vcc 1
		.amdhsa_reserve_flat_scratch 0
		.amdhsa_float_round_mode_32 0
		.amdhsa_float_round_mode_16_64 0
		.amdhsa_float_denorm_mode_32 3
		.amdhsa_float_denorm_mode_16_64 3
		.amdhsa_dx10_clamp 1
		.amdhsa_ieee_mode 1
		.amdhsa_fp16_overflow 0
		.amdhsa_tg_split 0
		.amdhsa_exception_fp_ieee_invalid_op 0
		.amdhsa_exception_fp_denorm_src 0
		.amdhsa_exception_fp_ieee_div_zero 0
		.amdhsa_exception_fp_ieee_overflow 0
		.amdhsa_exception_fp_ieee_underflow 0
		.amdhsa_exception_fp_ieee_inexact 0
		.amdhsa_exception_int_div_zero 0
	.end_amdhsa_kernel
	.text
.Lfunc_end4:
	.size	_ZN4vllm4gptq32gemm_half_q_half_alt_4bit_kernelEPK7__half2PKjP6__halfPKS6_S5_PKiiiib, .Lfunc_end4-_ZN4vllm4gptq32gemm_half_q_half_alt_4bit_kernelEPK7__half2PKjP6__halfPKS6_S5_PKiiiib
                                        ; -- End function
	.section	.AMDGPU.csdata,"",@progbits
; Kernel info:
; codeLenInByte = 3320
; NumSgprs: 48
; NumVgprs: 27
; NumAgprs: 0
; TotalNumVgprs: 27
; ScratchSize: 0
; MemoryBound: 0
; FloatMode: 240
; IeeeMode: 1
; LDSByteSize: 26624 bytes/workgroup (compile time only)
; SGPRBlocks: 5
; VGPRBlocks: 3
; NumSGPRsForWavesPerEU: 48
; NumVGPRsForWavesPerEU: 27
; AccumOffset: 28
; Occupancy: 8
; WaveLimiterHint : 1
; COMPUTE_PGM_RSRC2:SCRATCH_EN: 0
; COMPUTE_PGM_RSRC2:USER_SGPR: 8
; COMPUTE_PGM_RSRC2:TRAP_HANDLER: 0
; COMPUTE_PGM_RSRC2:TGID_X_EN: 1
; COMPUTE_PGM_RSRC2:TGID_Y_EN: 1
; COMPUTE_PGM_RSRC2:TGID_Z_EN: 1
; COMPUTE_PGM_RSRC2:TIDIG_COMP_CNT: 2
; COMPUTE_PGM_RSRC3_GFX90A:ACCUM_OFFSET: 6
; COMPUTE_PGM_RSRC3_GFX90A:TG_SPLIT: 0
	.text
	.protected	_ZN4vllm4gptq32gemm_half_q_half_alt_8bit_kernelEPK7__half2PKjP6__halfPKS6_S5_PKiiiib ; -- Begin function _ZN4vllm4gptq32gemm_half_q_half_alt_8bit_kernelEPK7__half2PKjP6__halfPKS6_S5_PKiiiib
	.globl	_ZN4vllm4gptq32gemm_half_q_half_alt_8bit_kernelEPK7__half2PKjP6__halfPKS6_S5_PKiiiib
	.p2align	8
	.type	_ZN4vllm4gptq32gemm_half_q_half_alt_8bit_kernelEPK7__half2PKjP6__halfPKS6_S5_PKiiiib,@function
_ZN4vllm4gptq32gemm_half_q_half_alt_8bit_kernelEPK7__half2PKjP6__halfPKS6_S5_PKiiiib: ; @_ZN4vllm4gptq32gemm_half_q_half_alt_8bit_kernelEPK7__half2PKjP6__halfPKS6_S5_PKiiiib
; %bb.0:
	s_load_dwordx4 s[12:15], s[6:7], 0x30
	s_lshl_b32 s22, s9, 3
	v_and_b32_e32 v4, 0x3ff, v0
	s_waitcnt lgkmcnt(0)
	s_sub_i32 s0, s12, s22
	v_cvt_f64_u32_e32 v[2:3], s0
	s_mov_b32 s0, 0
	s_mov_b32 s1, 0x40200000
	v_min_f64 v[2:3], v[2:3], s[0:1]
	s_lshl_b32 s0, s10, 5
	s_and_b32 s25, s0, 0x3fffffe0
	s_sub_i32 s0, s13, s25
	v_cvt_i32_f64_e32 v1, v[2:3]
	v_cvt_f64_u32_e32 v[2:3], s0
	s_mov_b32 s0, 0
	s_mov_b32 s1, 0x40400000
	v_min_f64 v[2:3], v[2:3], s[0:1]
	v_readfirstlane_b32 s23, v1
	v_add_f64 v[2:3], v[2:3], v[2:3]
	v_cvt_i32_f64_e32 v1, v[2:3]
	s_cmp_gt_i32 s23, 0
	v_cmp_lt_u32_e32 vcc, v4, v1
	s_cselect_b64 s[0:1], -1, 0
	v_readfirstlane_b32 s24, v1
	s_and_b64 s[16:17], vcc, s[0:1]
	s_and_saveexec_b64 s[2:3], s[16:17]
	s_cbranch_execz .LBB5_15
; %bb.1:
	s_load_dwordx2 s[16:17], s[6:7], 0x0
	s_lshl_b32 s10, s10, 6
	s_lshl_b32 s12, s13, 1
	s_and_b32 s26, s10, 0x7fffffc0
	s_cmp_lt_u32 s23, 24
	s_cselect_b64 s[18:19], -1, 0
	s_and_b64 vcc, exec, s[18:19]
	s_cbranch_vccnz .LBB5_11
; %bb.2:
	s_add_i32 s18, s23, -1
	s_sub_i32 s19, 0, s12
	s_cmp_gt_i32 s12, -1
	s_cselect_b64 s[10:11], -1, 0
	v_add_u32_e32 v1, s26, v4
	s_mul_i32 s9, s9, s13
	v_cndmask_b32_e64 v3, 0, -1, s[10:11]
	s_and_b64 s[10:11], s[10:11], exec
	v_lshl_add_u32 v2, s9, 4, v1
	s_cselect_b32 s9, s12, s19
	s_mul_i32 s19, s9, s18
	s_mul_hi_u32 s9, s9, s18
	s_cmp_eq_u32 s9, 0
	v_xor_b32_e32 v2, v2, v3
	s_cselect_b64 s[10:11], -1, 0
	v_cmp_le_u32_e32 vcc, s19, v2
	s_mov_b32 s20, 0
	s_and_b64 s[28:29], vcc, s[10:11]
	s_mov_b64 s[18:19], -1
	v_mov_b32_e32 v3, 0
	s_and_saveexec_b64 s[10:11], s[28:29]
	s_cbranch_execz .LBB5_12
; %bb.3:
	s_add_i32 s18, s23, -2
	s_lshr_b32 s9, s18, 1
	s_mov_b32 s21, 1
	s_add_i32 s9, s9, 1
	s_cmp_lt_u32 s18, 6
	s_mov_b64 s[18:19], s[20:21]
	s_cbranch_scc1 .LBB5_7
; %bb.4:
	s_and_b32 s19, s9, -4
	v_lshlrev_b32_e32 v5, 2, v4
	s_waitcnt lgkmcnt(0)
	v_mov_b32_e32 v6, s17
	v_mov_b32_e32 v3, 0
	s_mov_b32 s18, s20
.LBB5_5:                                ; =>This Inner Loop Header: Depth=1
	s_add_i32 s28, s18, s22
	s_mul_i32 s29, s12, s28
	s_add_i32 s27, s21, s22
	v_add_u32_e32 v2, s29, v1
	s_mul_i32 s30, s12, s27
	v_lshlrev_b64 v[16:17], 2, v[2:3]
	v_mov_b32_e32 v9, v3
	s_add_i32 s33, s28, 2
	v_add_u32_e32 v8, s30, v1
	v_add_co_u32_e32 v16, vcc, s16, v16
	s_mul_i32 s29, s12, s33
	v_lshlrev_b64 v[8:9], 2, v[8:9]
	v_addc_co_u32_e32 v17, vcc, v6, v17, vcc
	s_add_i32 s31, s27, 2
	v_add_u32_e32 v2, s29, v1
	v_add_co_u32_e32 v8, vcc, s16, v8
	s_mul_i32 s30, s12, s31
	v_addc_co_u32_e32 v9, vcc, v6, v9, vcc
	v_lshlrev_b64 v[18:19], 2, v[2:3]
	v_mov_b32_e32 v11, v3
	s_add_i32 s34, s27, 4
	v_add_u32_e32 v10, s30, v1
	v_add_co_u32_e32 v18, vcc, s16, v18
	s_mul_i32 s33, s12, s34
	v_lshlrev_b64 v[10:11], 2, v[10:11]
	v_addc_co_u32_e32 v19, vcc, v6, v19, vcc
	v_mov_b32_e32 v13, v3
	s_add_i32 s27, s27, 6
	v_add_u32_e32 v12, s33, v1
	v_add_co_u32_e32 v10, vcc, s16, v10
	s_mul_i32 s27, s12, s27
	v_lshlrev_b64 v[12:13], 2, v[12:13]
	v_addc_co_u32_e32 v11, vcc, v6, v11, vcc
	;; [unrolled: 7-line block ×3, first 2 shown]
	s_add_i32 s28, s28, 6
	v_add_u32_e32 v2, s31, v1
	v_add_co_u32_e32 v14, vcc, s16, v14
	s_mul_i32 s28, s12, s28
	v_lshlrev_b64 v[20:21], 2, v[2:3]
	v_addc_co_u32_e32 v15, vcc, v6, v15, vcc
	v_add_u32_e32 v2, s28, v1
	global_load_dword v7, v[16:17], off
	global_load_dword v22, v[8:9], off
	;; [unrolled: 1-line block ×4, first 2 shown]
	v_add_co_u32_e32 v8, vcc, s16, v20
	v_addc_co_u32_e32 v9, vcc, v6, v21, vcc
	v_lshlrev_b64 v[10:11], 2, v[2:3]
	v_add_co_u32_e32 v10, vcc, s16, v10
	v_addc_co_u32_e32 v11, vcc, v6, v11, vcc
	global_load_dword v2, v[8:9], off
	global_load_dword v16, v[12:13], off
	;; [unrolled: 1-line block ×4, first 2 shown]
	s_add_i32 s20, s20, 8
	s_add_i32 s21, s21, 8
	;; [unrolled: 1-line block ×3, first 2 shown]
	s_add_i32 s19, s19, -4
	s_cmp_lg_u32 s19, 0
	s_waitcnt vmcnt(6)
	ds_write2st64_b32 v5, v7, v22 offset1:1
	s_waitcnt vmcnt(4)
	ds_write2st64_b32 v5, v23, v24 offset0:2 offset1:3
	s_waitcnt vmcnt(2)
	ds_write2st64_b32 v5, v2, v16 offset0:4 offset1:5
	;; [unrolled: 2-line block ×3, first 2 shown]
	v_add_u32_e32 v5, 0x800, v5
	s_cbranch_scc1 .LBB5_5
; %bb.6:
	s_mov_b32 s19, s21
.LBB5_7:
	s_and_b32 s9, s9, 3
	s_cmp_eq_u32 s9, 0
	s_cbranch_scc1 .LBB5_10
; %bb.8:
	v_lshlrev_b32_e32 v2, 2, v4
	v_lshl_add_u32 v5, s20, 8, v2
	s_waitcnt lgkmcnt(0)
	v_mov_b32_e32 v6, s17
	v_mov_b32_e32 v3, 0
.LBB5_9:                                ; =>This Inner Loop Header: Depth=1
	s_add_i32 s21, s18, s22
	s_mul_i32 s21, s12, s21
	s_add_i32 s20, s19, s22
	v_add_u32_e32 v2, s21, v1
	s_mul_i32 s20, s12, s20
	v_lshlrev_b64 v[10:11], 2, v[2:3]
	v_mov_b32_e32 v9, v3
	v_add_u32_e32 v8, s20, v1
	v_add_co_u32_e32 v10, vcc, s16, v10
	v_lshlrev_b64 v[8:9], 2, v[8:9]
	v_addc_co_u32_e32 v11, vcc, v6, v11, vcc
	v_add_co_u32_e32 v8, vcc, s16, v8
	v_addc_co_u32_e32 v9, vcc, v6, v9, vcc
	global_load_dword v2, v[10:11], off
	global_load_dword v7, v[8:9], off
	s_add_i32 s19, s19, 2
	s_add_i32 s18, s18, 2
	s_add_i32 s9, s9, -1
	s_cmp_lg_u32 s9, 0
	s_waitcnt vmcnt(0)
	ds_write2st64_b32 v5, v2, v7 offset1:1
	v_add_u32_e32 v5, 0x200, v5
	s_cbranch_scc1 .LBB5_9
.LBB5_10:
	s_and_b32 s9, s23, 0x7ffffffe
	s_cmp_lg_u32 s9, s23
	s_cselect_b64 s[18:19], -1, 0
	v_mov_b32_e32 v3, s9
	s_orn2_b64 s[18:19], s[18:19], exec
	s_or_b64 exec, exec, s[10:11]
	s_and_b64 exec, exec, s[18:19]
	s_cbranch_execnz .LBB5_13
	s_branch .LBB5_15
.LBB5_11:
	v_mov_b32_e32 v3, 0
	s_and_b64 exec, exec, s[18:19]
	s_cbranch_execnz .LBB5_13
	s_branch .LBB5_15
.LBB5_12:
	s_or_b64 exec, exec, s[10:11]
	s_and_b64 exec, exec, s[18:19]
	s_cbranch_execz .LBB5_15
.LBB5_13:
	v_add_u32_e32 v2, s22, v3
	v_mul_lo_u32 v2, s13, v2
	v_lshlrev_b32_e32 v2, 1, v2
	v_lshlrev_b32_e32 v5, 2, v4
	v_sub_u32_e32 v1, s23, v3
	v_add3_u32 v2, v4, v2, s26
	v_lshl_add_u32 v5, v3, 8, v5
	s_mov_b64 s[10:11], 0
	v_mov_b32_e32 v3, 0
	s_waitcnt lgkmcnt(0)
	v_mov_b32_e32 v6, s17
.LBB5_14:                               ; =>This Inner Loop Header: Depth=1
	v_lshlrev_b64 v[8:9], 2, v[2:3]
	v_add_co_u32_e32 v8, vcc, s16, v8
	v_addc_co_u32_e32 v9, vcc, v6, v9, vcc
	global_load_dword v7, v[8:9], off
	v_add_u32_e32 v1, -1, v1
	v_cmp_eq_u32_e32 vcc, 0, v1
	v_add_u32_e32 v2, s12, v2
	s_or_b64 s[10:11], vcc, s[10:11]
	s_waitcnt vmcnt(0)
	ds_write_b32 v5, v7
	v_add_u32_e32 v5, 0x100, v5
	s_andn2_b64 exec, exec, s[10:11]
	s_cbranch_execnz .LBB5_14
.LBB5_15:
	s_or_b64 exec, exec, s[2:3]
	s_load_dwordx2 s[2:3], s[4:5], 0x4
	v_bfe_u32 v1, v0, 10, 10
	v_bfe_u32 v0, v0, 20, 10
	s_waitcnt lgkmcnt(0)
	s_barrier
	s_lshr_b32 s2, s2, 16
	s_mul_i32 s2, s2, s3
	v_mul_u32_u24_e32 v1, s3, v1
	v_mul_lo_u32 v2, s2, v4
	v_add3_u32 v5, v2, v1, v0
	v_mov_b32_e32 v1, 0
	v_lshlrev_b32_e32 v8, 4, v5
	v_mov_b32_e32 v0, v1
	v_mov_b32_e32 v2, v1
	;; [unrolled: 1-line block ×3, first 2 shown]
	ds_write_b128 v8, v[0:3] offset:2048
	v_cndmask_b32_e64 v0, 0, 1, s[0:1]
	v_lshl_add_u32 v6, s8, 7, v4
	v_add_u32_e32 v7, 0x800, v8
	s_mov_b32 s18, 0
	s_cmp_lt_i32 s24, 1
	v_cmp_ne_u32_e64 s[0:1], 1, v0
	s_cbranch_scc1 .LBB5_25
; %bb.16:
	s_ashr_i32 s2, s14, 31
	s_lshr_b32 s2, s2, 30
	s_add_i32 s2, s14, s2
	s_load_dwordx2 s[4:5], s[6:7], 0x8
	s_load_dwordx4 s[8:11], s[6:7], 0x18
	s_load_dwordx2 s[12:13], s[6:7], 0x28
	s_lshl_b32 s19, s25, 2
	s_ashr_i32 s20, s2, 2
	s_and_b32 s2, s15, 1
	s_mul_i32 s25, s25, s14
	s_add_i32 s15, s2, -1
	v_lshlrev_b32_e32 v0, 3, v4
	v_add_u32_e32 v4, s25, v6
	s_and_b32 s25, s23, 3
	s_cmp_gt_u32 s23, 3
	v_and_b32_e32 v2, 24, v0
	s_cselect_b64 s[2:3], -1, 0
	s_and_b32 s26, s23, 0x7ffffffc
	v_mov_b32_e32 v0, 0x800
	s_cmp_lg_u32 s25, 0
	v_lshl_add_u32 v9, v5, 4, v0
	v_cndmask_b32_e64 v0, 0, 1, s[2:3]
	v_lshrrev_b32_e32 v8, 2, v6
	s_mov_b32 s21, s15
	v_mov_b32_e32 v3, v2
	s_cselect_b64 s[16:17], -1, 0
	s_ashr_i32 s27, s19, 31
	s_mov_b32 s28, 0
	s_mov_b32 s29, 0x5040100
	v_cmp_ne_u32_e64 s[2:3], 1, v0
	s_mov_b32 s30, 0xffff
	s_branch .LBB5_18
.LBB5_17:                               ;   in Loop: Header=BB5_18 Depth=1
	s_add_i32 s28, s28, 2
	s_add_i32 s18, s18, 8
	s_cmp_ge_i32 s28, s24
	v_add_u32_e32 v4, s14, v4
	s_cbranch_scc1 .LBB5_25
.LBB5_18:                               ; =>This Loop Header: Depth=1
                                        ;     Child Loop BB5_21 Depth 2
                                        ;     Child Loop BB5_24 Depth 2
	s_and_b64 vcc, exec, s[0:1]
	s_cbranch_vccnz .LBB5_17
; %bb.19:                               ;   in Loop: Header=BB5_18 Depth=1
	s_lshl_b32 s31, s28, 1
	s_ashr_i32 s33, s31, 31
	s_add_u32 s34, s31, s19
	s_addc_u32 s35, s33, s27
	s_lshl_b64 s[34:35], s[34:35], 2
	s_waitcnt lgkmcnt(0)
	s_add_u32 s34, s12, s34
	s_addc_u32 s35, s13, s35
	s_add_i32 s36, s31, s19
	s_load_dwordx2 s[34:35], s[34:35], 0x8
	s_ashr_i32 s37, s36, 31
	s_lshl_b64 s[36:37], s[36:37], 2
	s_add_u32 s36, s12, s36
	s_addc_u32 s37, s13, s37
	s_load_dwordx2 s[36:37], s[36:37], 0x0
	s_waitcnt lgkmcnt(0)
	s_mul_i32 s31, s34, s14
	v_add_u32_e32 v0, s31, v6
	v_lshlrev_b64 v[10:11], 1, v[0:1]
	v_mov_b32_e32 v5, s9
	v_add_co_u32_e32 v10, vcc, s8, v10
	v_addc_co_u32_e32 v11, vcc, v5, v11, vcc
	s_mul_i32 s31, s34, s20
	global_load_ushort v12, v[10:11], off
	v_add_u32_e32 v10, s31, v8
	v_ashrrev_i32_e32 v11, 31, v10
	v_lshlrev_b64 v[10:11], 2, v[10:11]
	v_mov_b32_e32 v13, s11
	v_add_co_u32_e32 v10, vcc, s10, v10
	s_mul_i32 s31, s35, s14
	v_addc_co_u32_e32 v11, vcc, v13, v11, vcc
	v_add_u32_e32 v0, s31, v6
	global_load_dword v14, v[10:11], off
	v_lshlrev_b64 v[10:11], 1, v[0:1]
	v_add_co_u32_e32 v10, vcc, s8, v10
	v_addc_co_u32_e32 v11, vcc, v5, v11, vcc
	s_mul_i32 s31, s35, s20
	global_load_ushort v15, v[10:11], off
	v_add_u32_e32 v10, s31, v8
	v_ashrrev_i32_e32 v11, 31, v10
	v_lshlrev_b64 v[10:11], 2, v[10:11]
	v_add_co_u32_e32 v10, vcc, s10, v10
	s_mul_i32 s31, s36, s14
	v_addc_co_u32_e32 v11, vcc, v13, v11, vcc
	v_add_u32_e32 v0, s31, v6
	global_load_dword v16, v[10:11], off
	v_lshlrev_b64 v[10:11], 1, v[0:1]
	v_add_co_u32_e32 v10, vcc, s8, v10
	v_addc_co_u32_e32 v11, vcc, v5, v11, vcc
	s_mul_i32 s31, s36, s20
	global_load_ushort v17, v[10:11], off
	v_add_u32_e32 v10, s31, v8
	v_ashrrev_i32_e32 v11, 31, v10
	v_lshlrev_b64 v[10:11], 2, v[10:11]
	v_add_co_u32_e32 v10, vcc, s10, v10
	v_addc_co_u32_e32 v11, vcc, v13, v11, vcc
	s_mul_i32 s33, s37, s20
	global_load_dword v18, v[10:11], off
	v_add_u32_e32 v10, s33, v8
	v_ashrrev_i32_e32 v11, 31, v10
	v_lshlrev_b64 v[10:11], 2, v[10:11]
	v_add_co_u32_e32 v10, vcc, s10, v10
	v_addc_co_u32_e32 v11, vcc, v13, v11, vcc
	global_load_dword v13, v[10:11], off
	s_mul_i32 s31, s37, s14
	v_add_u32_e32 v0, s31, v6
	v_lshlrev_b64 v[10:11], 1, v[0:1]
	v_add_co_u32_e32 v10, vcc, s8, v10
	v_addc_co_u32_e32 v11, vcc, v5, v11, vcc
	v_ashrrev_i32_e32 v5, 31, v4
	global_load_ushort v0, v[10:11], off
	v_lshlrev_b64 v[10:11], 2, v[4:5]
	v_mov_b32_e32 v5, s5
	v_add_co_u32_e32 v10, vcc, s4, v10
	v_addc_co_u32_e32 v11, vcc, v5, v11, vcc
	global_load_dword v5, v[10:11], off
	s_and_b64 vcc, exec, s[2:3]
	s_mov_b32 s34, 0
	s_waitcnt vmcnt(7)
	v_bfe_u32 v11, v14, v2, 8
	v_sub_u32_e32 v11, s15, v11
	v_cvt_f32_i32_e32 v11, v11
	v_cvt_f16_f32_e32 v11, v11
	s_waitcnt vmcnt(6)
	v_perm_b32 v12, v15, v12, s29
	s_waitcnt vmcnt(5)
	v_bfe_u32 v10, v16, v3, 8
	v_sub_u32_e32 v10, s21, v10
	v_cvt_f32_i32_e32 v10, v10
	v_cvt_f16_f32_e32 v10, v10
	v_pack_b32_f16 v10, v11, v10
	v_pk_mul_f16 v10, v12, v10
	s_waitcnt vmcnt(3)
	v_bfe_u32 v14, v18, v2, 8
	v_sub_u32_e32 v14, s15, v14
	v_cvt_f32_i32_e32 v14, v14
	v_cvt_f16_f32_e32 v14, v14
	s_waitcnt vmcnt(2)
	v_bfe_u32 v13, v13, v3, 8
	v_sub_u32_e32 v13, s21, v13
	v_cvt_f32_i32_e32 v13, v13
	v_cvt_f16_f32_e32 v13, v13
	s_waitcnt vmcnt(1)
	v_perm_b32 v0, v0, v17, s29
	v_pack_b32_f16 v11, v14, v13
	v_pk_mul_f16 v11, v0, v11
	s_waitcnt vmcnt(0)
	v_cvt_f32_ubyte0_e32 v13, v5
	v_cvt_f32_ubyte1_e32 v14, v5
	v_cvt_f32_ubyte2_e32 v15, v5
	v_cvt_f32_ubyte3_e32 v5, v5
	v_cvt_f16_f32_e32 v13, v13
	v_cvt_f16_f32_e32 v14, v14
	v_cvt_f16_f32_e32 v15, v15
	v_cvt_f16_f32_e32 v5, v5
	v_pack_b32_f16 v13, v13, v14
	v_pk_fma_f16 v0, v13, v0, v11
	v_pack_b32_f16 v5, v15, v5
	v_pk_fma_f16 v5, v5, v12, v10
	s_cbranch_vccnz .LBB5_22
; %bb.20:                               ;   in Loop: Header=BB5_18 Depth=1
	s_mov_b32 s31, 0
	v_mov_b32_e32 v10, v7
	s_mov_b32 s33, s18
.LBB5_21:                               ;   Parent Loop BB5_18 Depth=1
                                        ; =>  This Inner Loop Header: Depth=2
	v_mov_b32_e32 v11, s33
	ds_read_b64 v[20:21], v10
	ds_read2_b64 v[12:15], v11 offset1:32
	ds_read2_b64 v[16:19], v11 offset0:64 offset1:96
	s_add_i32 s31, s31, 4
	s_addk_i32 s33, 0x400
	s_mov_b32 s34, s26
	s_waitcnt lgkmcnt(1)
	v_pk_fma_f16 v11, v0, v12, 0
	v_pk_fma_f16 v12, v0, v14, 0
	s_waitcnt lgkmcnt(0)
	v_pk_fma_f16 v14, v0, v16, 0
	v_pk_fma_f16 v16, v0, v18, 0
	v_and_b32_e32 v18, 0xffff0000, v11
	v_and_b32_e32 v22, 0xffff0000, v12
	v_and_b32_e32 v23, 0xffff0000, v14
	v_and_b32_e32 v24, 0xffff0000, v16
	v_and_or_b32 v11, v11, s30, v18
	v_and_or_b32 v12, v12, s30, v22
	;; [unrolled: 1-line block ×4, first 2 shown]
	v_pk_fma_f16 v11, v5, v13, v11
	v_pk_fma_f16 v12, v5, v15, v12
	;; [unrolled: 1-line block ×4, first 2 shown]
	v_cvt_u16_f16_e32 v15, v11
	v_cvt_u16_f16_sdwa v11, v11 dst_sel:DWORD dst_unused:UNUSED_PAD src0_sel:WORD_1
	v_cvt_u16_f16_e32 v16, v12
	v_cvt_u16_f16_sdwa v12, v12 dst_sel:DWORD dst_unused:UNUSED_PAD src0_sel:WORD_1
	;; [unrolled: 2-line block ×4, first 2 shown]
	v_add_f16_e32 v11, v15, v11
	v_add_f16_e32 v12, v16, v12
	;; [unrolled: 1-line block ×5, first 2 shown]
	v_add_f16_sdwa v12, v20, v12 dst_sel:DWORD dst_unused:UNUSED_PAD src0_sel:WORD_1 src1_sel:DWORD
	v_add_f16_e32 v13, v21, v13
	v_add_f16_sdwa v14, v21, v14 dst_sel:DWORD dst_unused:UNUSED_PAD src0_sel:WORD_1 src1_sel:DWORD
	v_pack_b32_f16 v13, v13, v14
	v_pack_b32_f16 v12, v11, v12
	s_cmp_eq_u32 s26, s31
	ds_write_b64 v10, v[12:13]
	v_add_u32_e32 v10, 8, v10
	s_cbranch_scc0 .LBB5_21
.LBB5_22:                               ;   in Loop: Header=BB5_18 Depth=1
	s_andn2_b64 vcc, exec, s[16:17]
	s_cbranch_vccnz .LBB5_17
; %bb.23:                               ;   in Loop: Header=BB5_18 Depth=1
	v_lshl_add_u32 v10, s34, 1, v9
	s_lshl_b32 s31, s34, 8
	s_mov_b32 s33, s25
.LBB5_24:                               ;   Parent Loop BB5_18 Depth=1
                                        ; =>  This Inner Loop Header: Depth=2
	s_add_i32 s34, s18, s31
	v_mov_b32_e32 v12, s34
	ds_read_b64 v[12:13], v12
	ds_read_u16 v11, v10
	s_addk_i32 s31, 0x100
	s_add_i32 s33, s33, -1
	s_cmp_lg_u32 s33, 0
	s_waitcnt lgkmcnt(1)
	v_pk_fma_f16 v12, v0, v12, 0
	v_and_b32_e32 v14, 0xffff0000, v12
	v_and_or_b32 v12, v12, s30, v14
	v_pk_fma_f16 v12, v5, v13, v12
	v_cvt_u16_f16_e32 v13, v12
	v_cvt_u16_f16_sdwa v12, v12 dst_sel:DWORD dst_unused:UNUSED_PAD src0_sel:WORD_1
	v_add_f16_e32 v12, v13, v12
	s_waitcnt lgkmcnt(0)
	v_add_f16_e32 v11, v11, v12
	ds_write_b16 v10, v11
	v_add_u32_e32 v10, 2, v10
	s_cbranch_scc1 .LBB5_24
	s_branch .LBB5_17
.LBB5_25:
	s_and_b64 vcc, exec, s[0:1]
	s_cbranch_vccnz .LBB5_34
; %bb.26:
	s_waitcnt lgkmcnt(0)
	s_load_dwordx2 s[4:5], s[6:7], 0x10
	s_mov_b32 s8, 0
	v_mov_b32_e32 v1, 0
	s_waitcnt lgkmcnt(0)
	v_mov_b32_e32 v8, s5
	s_mov_b32 s5, 0xffff0000
	s_branch .LBB5_28
.LBB5_27:                               ;   in Loop: Header=BB5_28 Depth=1
	s_or_b64 exec, exec, s[6:7]
	s_add_i32 s8, s8, 1
	s_cmp_eq_u32 s8, s23
	s_cbranch_scc1 .LBB5_34
.LBB5_28:                               ; =>This Loop Header: Depth=1
                                        ;     Child Loop BB5_30 Depth 2
	s_add_i32 s0, s8, s22
	s_mul_i32 s0, s0, s14
	v_add_u32_e32 v0, s0, v6
	v_lshlrev_b64 v[2:3], 1, v[0:1]
	v_add_co_u32_e32 v0, vcc, s4, v2
	v_addc_co_u32_e32 v3, vcc, v8, v3, vcc
	v_and_b32_e32 v2, -3, v0
	global_load_dword v5, v[2:3], off
	v_lshl_add_u32 v4, s8, 1, v7
	ds_read_u16 v9, v4
	v_and_b32_e32 v0, 2, v0
	s_mov_b64 s[6:7], 0
	v_cmp_eq_u64_e32 vcc, 0, v[0:1]
	v_cmp_ne_u32_e64 s[0:1], 0, v0
	s_branch .LBB5_30
.LBB5_29:                               ;   in Loop: Header=BB5_30 Depth=2
	s_or_b64 exec, exec, s[2:3]
	global_atomic_cmpswap v0, v[2:3], v[4:5], off glc
	s_waitcnt vmcnt(0)
	v_cmp_eq_u32_e64 s[2:3], v5, v0
	s_or_b64 s[6:7], s[2:3], s[6:7]
	v_mov_b32_e32 v5, v0
	s_andn2_b64 exec, exec, s[6:7]
	s_cbranch_execz .LBB5_27
.LBB5_30:                               ;   Parent Loop BB5_28 Depth=1
                                        ; =>  This Inner Loop Header: Depth=2
	s_waitcnt vmcnt(0)
	v_lshrrev_b32_e32 v0, 16, v5
	v_cndmask_b32_e32 v0, v0, v5, vcc
	s_waitcnt lgkmcnt(0)
	v_add_f16_e32 v0, v9, v0
	s_and_saveexec_b64 s[2:3], s[0:1]
	s_xor_b64 s[2:3], exec, s[2:3]
; %bb.31:                               ;   in Loop: Header=BB5_30 Depth=2
	v_and_b32_e32 v4, 0xffff, v5
	v_lshl_or_b32 v4, v0, 16, v4
                                        ; implicit-def: $vgpr0
; %bb.32:                               ;   in Loop: Header=BB5_30 Depth=2
	s_andn2_saveexec_b64 s[2:3], s[2:3]
	s_cbranch_execz .LBB5_29
; %bb.33:                               ;   in Loop: Header=BB5_30 Depth=2
	v_and_or_b32 v4, v5, s5, v0
	s_branch .LBB5_29
.LBB5_34:
	s_endpgm
	.section	.rodata,"a",@progbits
	.p2align	6, 0x0
	.amdhsa_kernel _ZN4vllm4gptq32gemm_half_q_half_alt_8bit_kernelEPK7__half2PKjP6__halfPKS6_S5_PKiiiib
		.amdhsa_group_segment_fixed_size 18432
		.amdhsa_private_segment_fixed_size 0
		.amdhsa_kernarg_size 64
		.amdhsa_user_sgpr_count 8
		.amdhsa_user_sgpr_private_segment_buffer 1
		.amdhsa_user_sgpr_dispatch_ptr 1
		.amdhsa_user_sgpr_queue_ptr 0
		.amdhsa_user_sgpr_kernarg_segment_ptr 1
		.amdhsa_user_sgpr_dispatch_id 0
		.amdhsa_user_sgpr_flat_scratch_init 0
		.amdhsa_user_sgpr_kernarg_preload_length 0
		.amdhsa_user_sgpr_kernarg_preload_offset 0
		.amdhsa_user_sgpr_private_segment_size 0
		.amdhsa_uses_dynamic_stack 0
		.amdhsa_system_sgpr_private_segment_wavefront_offset 0
		.amdhsa_system_sgpr_workgroup_id_x 1
		.amdhsa_system_sgpr_workgroup_id_y 1
		.amdhsa_system_sgpr_workgroup_id_z 1
		.amdhsa_system_sgpr_workgroup_info 0
		.amdhsa_system_vgpr_workitem_id 2
		.amdhsa_next_free_vgpr 25
		.amdhsa_next_free_sgpr 38
		.amdhsa_accum_offset 28
		.amdhsa_reserve_vcc 1
		.amdhsa_reserve_flat_scratch 0
		.amdhsa_float_round_mode_32 0
		.amdhsa_float_round_mode_16_64 0
		.amdhsa_float_denorm_mode_32 3
		.amdhsa_float_denorm_mode_16_64 3
		.amdhsa_dx10_clamp 1
		.amdhsa_ieee_mode 1
		.amdhsa_fp16_overflow 0
		.amdhsa_tg_split 0
		.amdhsa_exception_fp_ieee_invalid_op 0
		.amdhsa_exception_fp_denorm_src 0
		.amdhsa_exception_fp_ieee_div_zero 0
		.amdhsa_exception_fp_ieee_overflow 0
		.amdhsa_exception_fp_ieee_underflow 0
		.amdhsa_exception_fp_ieee_inexact 0
		.amdhsa_exception_int_div_zero 0
	.end_amdhsa_kernel
	.text
.Lfunc_end5:
	.size	_ZN4vllm4gptq32gemm_half_q_half_alt_8bit_kernelEPK7__half2PKjP6__halfPKS6_S5_PKiiiib, .Lfunc_end5-_ZN4vllm4gptq32gemm_half_q_half_alt_8bit_kernelEPK7__half2PKjP6__halfPKS6_S5_PKiiiib
                                        ; -- End function
	.section	.AMDGPU.csdata,"",@progbits
; Kernel info:
; codeLenInByte = 2712
; NumSgprs: 42
; NumVgprs: 25
; NumAgprs: 0
; TotalNumVgprs: 25
; ScratchSize: 0
; MemoryBound: 0
; FloatMode: 240
; IeeeMode: 1
; LDSByteSize: 18432 bytes/workgroup (compile time only)
; SGPRBlocks: 5
; VGPRBlocks: 3
; NumSGPRsForWavesPerEU: 42
; NumVGPRsForWavesPerEU: 25
; AccumOffset: 28
; Occupancy: 8
; WaveLimiterHint : 1
; COMPUTE_PGM_RSRC2:SCRATCH_EN: 0
; COMPUTE_PGM_RSRC2:USER_SGPR: 8
; COMPUTE_PGM_RSRC2:TRAP_HANDLER: 0
; COMPUTE_PGM_RSRC2:TGID_X_EN: 1
; COMPUTE_PGM_RSRC2:TGID_Y_EN: 1
; COMPUTE_PGM_RSRC2:TGID_Z_EN: 1
; COMPUTE_PGM_RSRC2:TIDIG_COMP_CNT: 2
; COMPUTE_PGM_RSRC3_GFX90A:ACCUM_OFFSET: 6
; COMPUTE_PGM_RSRC3_GFX90A:TG_SPLIT: 0
	.text
	.protected	_ZN4vllm4gptq28reconstruct_gptq_3bit_kernelEPKjPK6__halfS2_PKiiiibPS3_ ; -- Begin function _ZN4vllm4gptq28reconstruct_gptq_3bit_kernelEPKjPK6__halfS2_PKiiiibPS3_
	.globl	_ZN4vllm4gptq28reconstruct_gptq_3bit_kernelEPKjPK6__halfS2_PKiiiibPS3_
	.p2align	8
	.type	_ZN4vllm4gptq28reconstruct_gptq_3bit_kernelEPKjPK6__halfS2_PKiiiibPS3_,@function
_ZN4vllm4gptq28reconstruct_gptq_3bit_kernelEPKjPK6__halfS2_PKiiiibPS3_: ; @_ZN4vllm4gptq28reconstruct_gptq_3bit_kernelEPKjPK6__halfS2_PKiiiibPS3_
; %bb.0:
	s_load_dword s16, s[4:5], 0x24
	v_lshl_add_u32 v5, s6, 7, v0
	s_waitcnt lgkmcnt(0)
	v_cmp_gt_u32_e32 vcc, s16, v5
	s_and_saveexec_b64 s[0:1], vcc
	s_cbranch_execz .LBB6_175
; %bb.1:
	s_load_dwordx8 s[8:15], s[4:5], 0x0
	s_load_dwordx2 s[18:19], s[4:5], 0x30
	s_mul_i32 s26, s16, 3
	s_mul_i32 s0, s26, s7
	v_add_u32_e32 v2, s0, v5
	v_mov_b32_e32 v3, 0
	v_lshlrev_b64 v[6:7], 2, v[2:3]
	s_waitcnt lgkmcnt(0)
	v_mov_b32_e32 v1, s9
	v_add_co_u32_e32 v6, vcc, s8, v6
	v_add_u32_e32 v2, s16, v2
	s_lshl_b32 s20, s7, 5
	s_mov_b32 s21, 0
	v_addc_co_u32_e32 v7, vcc, v1, v7, vcc
	v_lshlrev_b64 v[8:9], 2, v[2:3]
	v_add_co_u32_e32 v8, vcc, s8, v8
	v_add_u32_e32 v2, s16, v2
	s_lshl_b64 s[0:1], s[20:21], 2
	v_addc_co_u32_e32 v9, vcc, v1, v9, vcc
	v_lshlrev_b64 v[2:3], 2, v[2:3]
	s_add_u32 s6, s14, s0
	v_add_co_u32_e32 v2, vcc, s8, v2
	s_addc_u32 s7, s15, s1
	v_addc_co_u32_e32 v3, vcc, v1, v3, vcc
	global_load_dword v12, v[6:7], off
	global_load_dword v11, v[8:9], off
	;; [unrolled: 1-line block ×3, first 2 shown]
	s_load_dword s0, s[6:7], 0x0
	v_lshl_add_u32 v1, v5, 1, v5
	v_ashrrev_i32_e32 v2, 31, v1
	v_lshrrev_b32_e32 v2, 27, v2
	v_add_u32_e32 v1, v1, v2
	s_waitcnt lgkmcnt(0)
	s_mul_i32 s1, s0, s16
	v_add_u32_e32 v2, s1, v5
	s_mul_i32 s0, s26, s0
	v_ashrrev_i32_e32 v3, 31, v2
	s_ashr_i32 s1, s0, 31
	v_lshlrev_b64 v[2:3], 1, v[2:3]
	s_lshr_b32 s1, s1, 27
	v_ashrrev_i32_e32 v8, 5, v1
	v_mov_b32_e32 v1, s11
	v_add_co_u32_e32 v2, vcc, s10, v2
	s_add_i32 s0, s0, s1
	v_addc_co_u32_e32 v3, vcc, v1, v3, vcc
	s_ashr_i32 s0, s0, 5
	global_load_ushort v13, v[2:3], off
	v_add_u32_e32 v2, s0, v8
	v_ashrrev_i32_e32 v3, 31, v2
	v_lshlrev_b64 v[2:3], 2, v[2:3]
	v_mov_b32_e32 v1, s13
	v_add_co_u32_e32 v2, vcc, s12, v2
	v_addc_co_u32_e32 v3, vcc, v1, v3, vcc
	global_load_dword v1, v[2:3], off
	v_and_b32_e32 v10, 31, v0
	v_cmp_lt_u32_e64 s[0:1], 9, v10
	v_cmp_lt_u32_e32 vcc, 20, v10
	v_cmp_lt_i32_e64 s[2:3], 20, v10
	s_mov_b64 s[8:9], 0
	s_mov_b64 s[14:15], 0
                                        ; implicit-def: $vgpr0
	s_and_saveexec_b64 s[22:23], s[2:3]
	s_xor_b64 s[22:23], exec, s[22:23]
	s_cbranch_execz .LBB6_5
; %bb.2:
	v_cmp_eq_u32_e64 s[2:3], 21, v10
	s_mov_b64 s[14:15], -1
                                        ; implicit-def: $vgpr0
	s_and_saveexec_b64 s[24:25], s[2:3]
	s_cbranch_execz .LBB6_4
; %bb.3:
	global_load_dword v0, v[2:3], off offset:4
	s_xor_b64 s[14:15], exec, -1
	s_waitcnt vmcnt(0)
	v_alignbit_b32 v0, v0, v1, 31
	v_and_b32_e32 v0, 7, v0
.LBB6_4:
	s_or_b64 exec, exec, s[24:25]
	s_and_b64 s[14:15], s[14:15], exec
.LBB6_5:
	s_or_saveexec_b64 s[22:23], s[22:23]
	v_not_b32_e32 v6, 63
	v_not_b32_e32 v14, 31
	v_cmp_ne_u32_e64 s[2:3], 10, v10
	s_xor_b64 exec, exec, s[22:23]
; %bb.6:
	s_andn2_b64 s[14:15], s[14:15], exec
	s_and_b64 s[24:25], s[2:3], exec
	s_mov_b64 s[8:9], exec
	s_or_b64 s[14:15], s[14:15], s[24:25]
                                        ; implicit-def: $vgpr0
; %bb.7:
	s_or_b64 exec, exec, s[22:23]
	v_mul_u32_u24_e32 v7, 3, v10
	v_mad_u32_u24 v9, v10, 3, v6
	v_mad_u32_u24 v6, v10, 3, v14
	s_and_saveexec_b64 s[22:23], s[14:15]
	s_xor_b64 s[14:15], exec, s[22:23]
	s_cbranch_execz .LBB6_17
; %bb.8:
                                        ; implicit-def: $vgpr0
	s_and_saveexec_b64 s[22:23], s[0:1]
	s_xor_b64 s[22:23], exec, s[22:23]
	s_cbranch_execz .LBB6_14
; %bb.9:
                                        ; implicit-def: $vgpr0
	s_and_saveexec_b64 s[24:25], vcc
	s_xor_b64 s[24:25], exec, s[24:25]
	s_cbranch_execz .LBB6_11
; %bb.10:
	s_waitcnt vmcnt(0)
	v_bfe_u32 v0, v1, v9, 3
.LBB6_11:
	s_andn2_saveexec_b64 s[24:25], s[24:25]
	s_cbranch_execz .LBB6_13
; %bb.12:
	s_waitcnt vmcnt(0)
	v_bfe_u32 v0, v1, v6, 3
.LBB6_13:
	s_or_b64 exec, exec, s[24:25]
.LBB6_14:
	s_andn2_saveexec_b64 s[22:23], s[22:23]
	s_cbranch_execz .LBB6_16
; %bb.15:
	s_waitcnt vmcnt(0)
	v_bfe_u32 v0, v1, v7, 3
.LBB6_16:
	s_or_b64 exec, exec, s[22:23]
	s_andn2_b64 s[8:9], s[8:9], exec
.LBB6_17:
	s_or_b64 exec, exec, s[14:15]
	s_and_saveexec_b64 s[14:15], s[8:9]
	s_cbranch_execz .LBB6_19
; %bb.18:
	global_load_dword v0, v[2:3], off offset:4
	s_waitcnt vmcnt(0)
	v_alignbit_b32 v0, v0, v1, 30
	v_and_b32_e32 v0, 7, v0
.LBB6_19:
	s_or_b64 exec, exec, s[14:15]
	s_load_dword s4, s[4:5], 0x2c
	s_waitcnt vmcnt(0)
	v_and_b32_e32 v1, 7, v12
	s_mul_i32 s5, s20, s16
	s_load_dword s8, s[6:7], 0x4
	v_mov_b32_e32 v2, s19
	s_waitcnt lgkmcnt(0)
	s_and_b32 s24, s4, 1
	s_add_i32 s24, s24, -1
	v_sub_u32_e32 v0, s24, v0
	v_add_u32_e32 v0, v0, v1
	v_cvt_f32_i32_e32 v3, v0
	v_add_u32_e32 v0, s5, v5
	v_ashrrev_i32_e32 v1, 31, v0
	v_lshlrev_b64 v[0:1], 1, v[0:1]
	v_cvt_f16_f32_e32 v3, v3
	v_add_co_u32_e64 v0, s[4:5], s18, v0
	v_addc_co_u32_e64 v1, s[4:5], v2, v1, s[4:5]
	v_mul_f16_e32 v2, v13, v3
	s_mul_i32 s4, s8, s16
	global_store_short v[0:1], v2, off
	v_add_u32_e32 v2, s4, v5
	v_ashrrev_i32_e32 v3, 31, v2
	v_lshlrev_b64 v[2:3], 1, v[2:3]
	v_mov_b32_e32 v13, s11
	v_add_co_u32_e64 v2, s[4:5], s10, v2
	v_addc_co_u32_e64 v3, s[4:5], v13, v3, s[4:5]
	s_mul_i32 s4, s26, s8
	s_ashr_i32 s5, s4, 31
	s_lshr_b32 s5, s5, 27
	s_add_i32 s4, s4, s5
	s_ashr_i32 s4, s4, 5
	global_load_ushort v13, v[2:3], off
	v_add_u32_e32 v2, s4, v8
	v_ashrrev_i32_e32 v3, 31, v2
	v_lshlrev_b64 v[2:3], 2, v[2:3]
	v_mov_b32_e32 v14, s13
	v_add_co_u32_e64 v2, s[4:5], s12, v2
	v_addc_co_u32_e64 v3, s[4:5], v14, v3, s[4:5]
	global_load_dword v14, v[2:3], off
	v_cmp_lt_i32_e64 s[4:5], 20, v10
	s_mov_b64 s[8:9], 0
	s_mov_b64 s[14:15], 0
                                        ; implicit-def: $vgpr15
	s_and_saveexec_b64 s[18:19], s[4:5]
	s_xor_b64 s[18:19], exec, s[18:19]
	s_cbranch_execnz .LBB6_176
; %bb.20:
	s_andn2_saveexec_b64 s[4:5], s[18:19]
	s_cbranch_execnz .LBB6_179
.LBB6_21:
	s_or_b64 exec, exec, s[4:5]
	s_and_saveexec_b64 s[4:5], s[14:15]
	s_xor_b64 s[4:5], exec, s[4:5]
	s_cbranch_execnz .LBB6_180
.LBB6_22:
	s_or_b64 exec, exec, s[4:5]
	s_and_saveexec_b64 s[4:5], s[8:9]
	s_cbranch_execz .LBB6_24
.LBB6_23:
	global_load_dword v2, v[2:3], off offset:4
	s_waitcnt vmcnt(0)
	v_alignbit_b32 v2, v2, v14, 30
	v_and_b32_e32 v15, 7, v2
.LBB6_24:
	s_or_b64 exec, exec, s[4:5]
	v_bfe_u32 v2, v12, 3, 3
	v_sub_u32_e32 v3, s24, v15
	v_add_u32_e32 v2, v3, v2
	v_cvt_f32_i32_e32 v2, v2
	s_load_dword s14, s[6:7], 0x8
	s_ashr_i32 s17, s16, 31
	s_lshl_b64 s[8:9], s[16:17], 1
	v_cvt_f16_f32_e32 v2, v2
	v_mov_b32_e32 v3, s9
	v_add_co_u32_e64 v0, s[4:5], s8, v0
	v_addc_co_u32_e64 v1, s[4:5], v1, v3, s[4:5]
	s_waitcnt vmcnt(1)
	v_mul_f16_e32 v2, v13, v2
	s_waitcnt lgkmcnt(0)
	s_mul_i32 s4, s14, s16
	global_store_short v[0:1], v2, off
	v_add_u32_e32 v2, s4, v5
	v_ashrrev_i32_e32 v3, 31, v2
	v_lshlrev_b64 v[2:3], 1, v[2:3]
	v_mov_b32_e32 v13, s11
	v_add_co_u32_e64 v2, s[4:5], s10, v2
	v_addc_co_u32_e64 v3, s[4:5], v13, v3, s[4:5]
	s_mul_i32 s4, s26, s14
	s_ashr_i32 s5, s4, 31
	s_lshr_b32 s5, s5, 27
	s_add_i32 s4, s4, s5
	s_ashr_i32 s4, s4, 5
	global_load_ushort v13, v[2:3], off
	v_add_u32_e32 v2, s4, v8
	v_ashrrev_i32_e32 v3, 31, v2
	v_lshlrev_b64 v[2:3], 2, v[2:3]
	s_waitcnt vmcnt(2)
	v_mov_b32_e32 v14, s13
	v_add_co_u32_e64 v2, s[4:5], s12, v2
	v_addc_co_u32_e64 v3, s[4:5], v14, v3, s[4:5]
	global_load_dword v14, v[2:3], off
	v_cmp_lt_i32_e64 s[4:5], 20, v10
	s_mov_b64 s[14:15], 0
	s_mov_b64 s[18:19], 0
                                        ; implicit-def: $vgpr15
	s_and_saveexec_b64 s[20:21], s[4:5]
	s_xor_b64 s[20:21], exec, s[20:21]
	s_cbranch_execnz .LBB6_189
; %bb.25:
	s_andn2_saveexec_b64 s[4:5], s[20:21]
	s_cbranch_execnz .LBB6_192
.LBB6_26:
	s_or_b64 exec, exec, s[4:5]
	s_and_saveexec_b64 s[4:5], s[18:19]
	s_xor_b64 s[4:5], exec, s[4:5]
	s_cbranch_execnz .LBB6_193
.LBB6_27:
	s_or_b64 exec, exec, s[4:5]
	s_and_saveexec_b64 s[4:5], s[14:15]
	s_cbranch_execz .LBB6_29
.LBB6_28:
	global_load_dword v2, v[2:3], off offset:4
	s_waitcnt vmcnt(0)
	v_alignbit_b32 v2, v2, v14, 30
	v_and_b32_e32 v15, 7, v2
.LBB6_29:
	s_or_b64 exec, exec, s[4:5]
	v_bfe_u32 v2, v12, 6, 3
	v_sub_u32_e32 v3, s24, v15
	v_add_u32_e32 v2, v3, v2
	v_cvt_f32_i32_e32 v2, v2
	s_load_dword s14, s[6:7], 0xc
	v_mov_b32_e32 v3, s9
	v_add_co_u32_e64 v0, s[4:5], s8, v0
	v_cvt_f16_f32_e32 v2, v2
	v_addc_co_u32_e64 v1, s[4:5], v1, v3, s[4:5]
	s_waitcnt lgkmcnt(0)
	s_mul_i32 s4, s14, s16
	s_waitcnt vmcnt(1)
	v_mul_f16_e32 v2, v13, v2
	global_store_short v[0:1], v2, off
	v_add_u32_e32 v2, s4, v5
	v_ashrrev_i32_e32 v3, 31, v2
	v_lshlrev_b64 v[2:3], 1, v[2:3]
	v_mov_b32_e32 v13, s11
	v_add_co_u32_e64 v2, s[4:5], s10, v2
	v_addc_co_u32_e64 v3, s[4:5], v13, v3, s[4:5]
	s_mul_i32 s4, s26, s14
	s_ashr_i32 s5, s4, 31
	s_lshr_b32 s5, s5, 27
	s_add_i32 s4, s4, s5
	s_ashr_i32 s4, s4, 5
	global_load_ushort v13, v[2:3], off
	v_add_u32_e32 v2, s4, v8
	v_ashrrev_i32_e32 v3, 31, v2
	v_lshlrev_b64 v[2:3], 2, v[2:3]
	s_waitcnt vmcnt(2)
	v_mov_b32_e32 v14, s13
	v_add_co_u32_e64 v2, s[4:5], s12, v2
	v_addc_co_u32_e64 v3, s[4:5], v14, v3, s[4:5]
	global_load_dword v14, v[2:3], off
	v_cmp_lt_i32_e64 s[4:5], 20, v10
	s_mov_b64 s[14:15], 0
	s_mov_b64 s[18:19], 0
                                        ; implicit-def: $vgpr15
	s_and_saveexec_b64 s[20:21], s[4:5]
	s_xor_b64 s[20:21], exec, s[20:21]
	s_cbranch_execnz .LBB6_202
; %bb.30:
	s_andn2_saveexec_b64 s[4:5], s[20:21]
	s_cbranch_execnz .LBB6_205
.LBB6_31:
	s_or_b64 exec, exec, s[4:5]
	s_and_saveexec_b64 s[4:5], s[18:19]
	s_xor_b64 s[4:5], exec, s[4:5]
	s_cbranch_execnz .LBB6_206
.LBB6_32:
	s_or_b64 exec, exec, s[4:5]
	s_and_saveexec_b64 s[4:5], s[14:15]
	s_cbranch_execz .LBB6_34
.LBB6_33:
	global_load_dword v2, v[2:3], off offset:4
	s_waitcnt vmcnt(0)
	v_alignbit_b32 v2, v2, v14, 30
	v_and_b32_e32 v15, 7, v2
.LBB6_34:
	s_or_b64 exec, exec, s[4:5]
	v_bfe_u32 v2, v12, 9, 3
	v_sub_u32_e32 v3, s24, v15
	v_add_u32_e32 v2, v3, v2
	v_cvt_f32_i32_e32 v2, v2
	s_load_dword s14, s[6:7], 0x10
	v_mov_b32_e32 v3, s9
	v_add_co_u32_e64 v0, s[4:5], s8, v0
	v_cvt_f16_f32_e32 v2, v2
	v_addc_co_u32_e64 v1, s[4:5], v1, v3, s[4:5]
	s_waitcnt lgkmcnt(0)
	s_mul_i32 s4, s14, s16
	s_waitcnt vmcnt(1)
	v_mul_f16_e32 v2, v13, v2
	global_store_short v[0:1], v2, off
	v_add_u32_e32 v2, s4, v5
	v_ashrrev_i32_e32 v3, 31, v2
	v_lshlrev_b64 v[2:3], 1, v[2:3]
	v_mov_b32_e32 v13, s11
	v_add_co_u32_e64 v2, s[4:5], s10, v2
	v_addc_co_u32_e64 v3, s[4:5], v13, v3, s[4:5]
	s_mul_i32 s4, s26, s14
	s_ashr_i32 s5, s4, 31
	s_lshr_b32 s5, s5, 27
	s_add_i32 s4, s4, s5
	s_ashr_i32 s4, s4, 5
	global_load_ushort v13, v[2:3], off
	v_add_u32_e32 v2, s4, v8
	v_ashrrev_i32_e32 v3, 31, v2
	v_lshlrev_b64 v[2:3], 2, v[2:3]
	s_waitcnt vmcnt(2)
	v_mov_b32_e32 v14, s13
	v_add_co_u32_e64 v2, s[4:5], s12, v2
	v_addc_co_u32_e64 v3, s[4:5], v14, v3, s[4:5]
	global_load_dword v14, v[2:3], off
	v_cmp_lt_i32_e64 s[4:5], 20, v10
	s_mov_b64 s[14:15], 0
	s_mov_b64 s[18:19], 0
                                        ; implicit-def: $vgpr15
	s_and_saveexec_b64 s[20:21], s[4:5]
	s_xor_b64 s[20:21], exec, s[20:21]
	s_cbranch_execnz .LBB6_215
; %bb.35:
	s_andn2_saveexec_b64 s[4:5], s[20:21]
	s_cbranch_execnz .LBB6_218
.LBB6_36:
	s_or_b64 exec, exec, s[4:5]
	s_and_saveexec_b64 s[4:5], s[18:19]
	s_xor_b64 s[4:5], exec, s[4:5]
	s_cbranch_execnz .LBB6_219
.LBB6_37:
	s_or_b64 exec, exec, s[4:5]
	s_and_saveexec_b64 s[4:5], s[14:15]
	s_cbranch_execz .LBB6_39
.LBB6_38:
	global_load_dword v2, v[2:3], off offset:4
	s_waitcnt vmcnt(0)
	v_alignbit_b32 v2, v2, v14, 30
	v_and_b32_e32 v15, 7, v2
.LBB6_39:
	s_or_b64 exec, exec, s[4:5]
	v_bfe_u32 v2, v12, 12, 3
	v_sub_u32_e32 v3, s24, v15
	v_add_u32_e32 v2, v3, v2
	v_cvt_f32_i32_e32 v2, v2
	s_load_dword s14, s[6:7], 0x14
	v_mov_b32_e32 v3, s9
	v_add_co_u32_e64 v0, s[4:5], s8, v0
	v_cvt_f16_f32_e32 v2, v2
	v_addc_co_u32_e64 v1, s[4:5], v1, v3, s[4:5]
	s_waitcnt lgkmcnt(0)
	s_mul_i32 s4, s14, s16
	s_waitcnt vmcnt(1)
	v_mul_f16_e32 v2, v13, v2
	global_store_short v[0:1], v2, off
	v_add_u32_e32 v2, s4, v5
	v_ashrrev_i32_e32 v3, 31, v2
	v_lshlrev_b64 v[2:3], 1, v[2:3]
	v_mov_b32_e32 v13, s11
	v_add_co_u32_e64 v2, s[4:5], s10, v2
	v_addc_co_u32_e64 v3, s[4:5], v13, v3, s[4:5]
	s_mul_i32 s4, s26, s14
	s_ashr_i32 s5, s4, 31
	s_lshr_b32 s5, s5, 27
	s_add_i32 s4, s4, s5
	s_ashr_i32 s4, s4, 5
	global_load_ushort v13, v[2:3], off
	v_add_u32_e32 v2, s4, v8
	v_ashrrev_i32_e32 v3, 31, v2
	v_lshlrev_b64 v[2:3], 2, v[2:3]
	s_waitcnt vmcnt(2)
	v_mov_b32_e32 v14, s13
	v_add_co_u32_e64 v2, s[4:5], s12, v2
	v_addc_co_u32_e64 v3, s[4:5], v14, v3, s[4:5]
	global_load_dword v14, v[2:3], off
	v_cmp_lt_i32_e64 s[4:5], 20, v10
	s_mov_b64 s[14:15], 0
	s_mov_b64 s[18:19], 0
                                        ; implicit-def: $vgpr15
	s_and_saveexec_b64 s[20:21], s[4:5]
	s_xor_b64 s[20:21], exec, s[20:21]
	s_cbranch_execnz .LBB6_228
; %bb.40:
	s_andn2_saveexec_b64 s[4:5], s[20:21]
	s_cbranch_execnz .LBB6_231
.LBB6_41:
	s_or_b64 exec, exec, s[4:5]
	s_and_saveexec_b64 s[4:5], s[18:19]
	s_xor_b64 s[4:5], exec, s[4:5]
	s_cbranch_execnz .LBB6_232
.LBB6_42:
	s_or_b64 exec, exec, s[4:5]
	s_and_saveexec_b64 s[4:5], s[14:15]
	s_cbranch_execz .LBB6_44
.LBB6_43:
	global_load_dword v2, v[2:3], off offset:4
	s_waitcnt vmcnt(0)
	v_alignbit_b32 v2, v2, v14, 30
	v_and_b32_e32 v15, 7, v2
.LBB6_44:
	s_or_b64 exec, exec, s[4:5]
	v_bfe_u32 v2, v12, 15, 3
	v_sub_u32_e32 v3, s24, v15
	v_add_u32_e32 v2, v3, v2
	v_cvt_f32_i32_e32 v2, v2
	s_load_dword s14, s[6:7], 0x18
	v_mov_b32_e32 v3, s9
	v_add_co_u32_e64 v0, s[4:5], s8, v0
	v_cvt_f16_f32_e32 v2, v2
	v_addc_co_u32_e64 v1, s[4:5], v1, v3, s[4:5]
	s_waitcnt lgkmcnt(0)
	s_mul_i32 s4, s14, s16
	s_waitcnt vmcnt(1)
	v_mul_f16_e32 v2, v13, v2
	global_store_short v[0:1], v2, off
	v_add_u32_e32 v2, s4, v5
	v_ashrrev_i32_e32 v3, 31, v2
	v_lshlrev_b64 v[2:3], 1, v[2:3]
	v_mov_b32_e32 v13, s11
	v_add_co_u32_e64 v2, s[4:5], s10, v2
	v_addc_co_u32_e64 v3, s[4:5], v13, v3, s[4:5]
	s_mul_i32 s4, s26, s14
	s_ashr_i32 s5, s4, 31
	s_lshr_b32 s5, s5, 27
	s_add_i32 s4, s4, s5
	s_ashr_i32 s4, s4, 5
	global_load_ushort v13, v[2:3], off
	v_add_u32_e32 v2, s4, v8
	v_ashrrev_i32_e32 v3, 31, v2
	v_lshlrev_b64 v[2:3], 2, v[2:3]
	s_waitcnt vmcnt(2)
	v_mov_b32_e32 v14, s13
	v_add_co_u32_e64 v2, s[4:5], s12, v2
	v_addc_co_u32_e64 v3, s[4:5], v14, v3, s[4:5]
	global_load_dword v14, v[2:3], off
	v_cmp_lt_i32_e64 s[4:5], 20, v10
	s_mov_b64 s[14:15], 0
	s_mov_b64 s[18:19], 0
                                        ; implicit-def: $vgpr15
	s_and_saveexec_b64 s[20:21], s[4:5]
	s_xor_b64 s[20:21], exec, s[20:21]
	s_cbranch_execnz .LBB6_241
; %bb.45:
	s_andn2_saveexec_b64 s[4:5], s[20:21]
	s_cbranch_execnz .LBB6_244
.LBB6_46:
	s_or_b64 exec, exec, s[4:5]
	s_and_saveexec_b64 s[4:5], s[18:19]
	s_xor_b64 s[4:5], exec, s[4:5]
	s_cbranch_execnz .LBB6_245
.LBB6_47:
	s_or_b64 exec, exec, s[4:5]
	s_and_saveexec_b64 s[4:5], s[14:15]
	s_cbranch_execz .LBB6_49
.LBB6_48:
	global_load_dword v2, v[2:3], off offset:4
	s_waitcnt vmcnt(0)
	v_alignbit_b32 v2, v2, v14, 30
	v_and_b32_e32 v15, 7, v2
.LBB6_49:
	s_or_b64 exec, exec, s[4:5]
	v_bfe_u32 v2, v12, 18, 3
	v_sub_u32_e32 v3, s24, v15
	v_add_u32_e32 v2, v3, v2
	v_cvt_f32_i32_e32 v2, v2
	s_load_dword s14, s[6:7], 0x1c
	v_mov_b32_e32 v3, s9
	v_add_co_u32_e64 v0, s[4:5], s8, v0
	v_cvt_f16_f32_e32 v2, v2
	v_addc_co_u32_e64 v1, s[4:5], v1, v3, s[4:5]
	s_waitcnt lgkmcnt(0)
	s_mul_i32 s4, s14, s16
	s_waitcnt vmcnt(1)
	v_mul_f16_e32 v2, v13, v2
	global_store_short v[0:1], v2, off
	v_add_u32_e32 v2, s4, v5
	v_ashrrev_i32_e32 v3, 31, v2
	v_lshlrev_b64 v[2:3], 1, v[2:3]
	v_mov_b32_e32 v13, s11
	v_add_co_u32_e64 v2, s[4:5], s10, v2
	v_addc_co_u32_e64 v3, s[4:5], v13, v3, s[4:5]
	s_mul_i32 s4, s26, s14
	s_ashr_i32 s5, s4, 31
	s_lshr_b32 s5, s5, 27
	s_add_i32 s4, s4, s5
	s_ashr_i32 s4, s4, 5
	global_load_ushort v13, v[2:3], off
	v_add_u32_e32 v2, s4, v8
	v_ashrrev_i32_e32 v3, 31, v2
	v_lshlrev_b64 v[2:3], 2, v[2:3]
	s_waitcnt vmcnt(2)
	v_mov_b32_e32 v14, s13
	v_add_co_u32_e64 v2, s[4:5], s12, v2
	v_addc_co_u32_e64 v3, s[4:5], v14, v3, s[4:5]
	global_load_dword v14, v[2:3], off
	v_cmp_lt_i32_e64 s[4:5], 20, v10
	s_mov_b64 s[14:15], 0
	s_mov_b64 s[18:19], 0
                                        ; implicit-def: $vgpr15
	s_and_saveexec_b64 s[20:21], s[4:5]
	s_xor_b64 s[20:21], exec, s[20:21]
	s_cbranch_execnz .LBB6_254
; %bb.50:
	s_andn2_saveexec_b64 s[4:5], s[20:21]
	s_cbranch_execnz .LBB6_257
.LBB6_51:
	s_or_b64 exec, exec, s[4:5]
	s_and_saveexec_b64 s[4:5], s[18:19]
	s_xor_b64 s[4:5], exec, s[4:5]
	s_cbranch_execnz .LBB6_258
.LBB6_52:
	s_or_b64 exec, exec, s[4:5]
	s_and_saveexec_b64 s[4:5], s[14:15]
	s_cbranch_execz .LBB6_54
.LBB6_53:
	global_load_dword v2, v[2:3], off offset:4
	s_waitcnt vmcnt(0)
	v_alignbit_b32 v2, v2, v14, 30
	v_and_b32_e32 v15, 7, v2
.LBB6_54:
	s_or_b64 exec, exec, s[4:5]
	v_bfe_u32 v2, v12, 21, 3
	v_sub_u32_e32 v3, s24, v15
	v_add_u32_e32 v2, v3, v2
	v_cvt_f32_i32_e32 v2, v2
	s_load_dword s14, s[6:7], 0x20
	v_mov_b32_e32 v3, s9
	v_add_co_u32_e64 v0, s[4:5], s8, v0
	v_cvt_f16_f32_e32 v2, v2
	v_addc_co_u32_e64 v1, s[4:5], v1, v3, s[4:5]
	s_waitcnt lgkmcnt(0)
	s_mul_i32 s4, s14, s16
	s_waitcnt vmcnt(1)
	v_mul_f16_e32 v2, v13, v2
	global_store_short v[0:1], v2, off
	v_add_u32_e32 v2, s4, v5
	v_ashrrev_i32_e32 v3, 31, v2
	v_lshlrev_b64 v[2:3], 1, v[2:3]
	v_mov_b32_e32 v13, s11
	v_add_co_u32_e64 v2, s[4:5], s10, v2
	v_addc_co_u32_e64 v3, s[4:5], v13, v3, s[4:5]
	s_mul_i32 s4, s26, s14
	s_ashr_i32 s5, s4, 31
	s_lshr_b32 s5, s5, 27
	s_add_i32 s4, s4, s5
	s_ashr_i32 s4, s4, 5
	global_load_ushort v13, v[2:3], off
	v_add_u32_e32 v2, s4, v8
	v_ashrrev_i32_e32 v3, 31, v2
	v_lshlrev_b64 v[2:3], 2, v[2:3]
	s_waitcnt vmcnt(2)
	v_mov_b32_e32 v14, s13
	v_add_co_u32_e64 v2, s[4:5], s12, v2
	v_addc_co_u32_e64 v3, s[4:5], v14, v3, s[4:5]
	global_load_dword v14, v[2:3], off
	v_cmp_lt_i32_e64 s[4:5], 20, v10
	s_mov_b64 s[14:15], 0
	s_mov_b64 s[18:19], 0
                                        ; implicit-def: $vgpr15
	s_and_saveexec_b64 s[20:21], s[4:5]
	s_xor_b64 s[20:21], exec, s[20:21]
	s_cbranch_execnz .LBB6_267
; %bb.55:
	s_andn2_saveexec_b64 s[4:5], s[20:21]
	s_cbranch_execnz .LBB6_270
.LBB6_56:
	s_or_b64 exec, exec, s[4:5]
	s_and_saveexec_b64 s[4:5], s[18:19]
	s_xor_b64 s[4:5], exec, s[4:5]
	s_cbranch_execnz .LBB6_271
.LBB6_57:
	s_or_b64 exec, exec, s[4:5]
	s_and_saveexec_b64 s[4:5], s[14:15]
	s_cbranch_execz .LBB6_59
.LBB6_58:
	global_load_dword v2, v[2:3], off offset:4
	s_waitcnt vmcnt(0)
	v_alignbit_b32 v2, v2, v14, 30
	v_and_b32_e32 v15, 7, v2
.LBB6_59:
	s_or_b64 exec, exec, s[4:5]
	v_bfe_u32 v2, v12, 24, 3
	v_sub_u32_e32 v3, s24, v15
	v_add_u32_e32 v2, v3, v2
	v_cvt_f32_i32_e32 v2, v2
	s_load_dword s14, s[6:7], 0x24
	v_mov_b32_e32 v3, s9
	v_add_co_u32_e64 v0, s[4:5], s8, v0
	v_cvt_f16_f32_e32 v2, v2
	v_addc_co_u32_e64 v1, s[4:5], v1, v3, s[4:5]
	s_waitcnt lgkmcnt(0)
	s_mul_i32 s4, s14, s16
	s_waitcnt vmcnt(1)
	v_mul_f16_e32 v2, v13, v2
	global_store_short v[0:1], v2, off
	v_add_u32_e32 v2, s4, v5
	v_ashrrev_i32_e32 v3, 31, v2
	v_lshlrev_b64 v[2:3], 1, v[2:3]
	v_mov_b32_e32 v13, s11
	v_add_co_u32_e64 v2, s[4:5], s10, v2
	v_addc_co_u32_e64 v3, s[4:5], v13, v3, s[4:5]
	s_mul_i32 s4, s26, s14
	s_ashr_i32 s5, s4, 31
	s_lshr_b32 s5, s5, 27
	s_add_i32 s4, s4, s5
	s_ashr_i32 s4, s4, 5
	global_load_ushort v13, v[2:3], off
	v_add_u32_e32 v2, s4, v8
	v_ashrrev_i32_e32 v3, 31, v2
	v_lshlrev_b64 v[2:3], 2, v[2:3]
	s_waitcnt vmcnt(2)
	v_mov_b32_e32 v14, s13
	v_add_co_u32_e64 v2, s[4:5], s12, v2
	v_addc_co_u32_e64 v3, s[4:5], v14, v3, s[4:5]
	global_load_dword v14, v[2:3], off
	v_cmp_lt_i32_e64 s[4:5], 20, v10
	s_mov_b64 s[14:15], 0
	s_mov_b64 s[18:19], 0
                                        ; implicit-def: $vgpr15
	s_and_saveexec_b64 s[20:21], s[4:5]
	s_xor_b64 s[20:21], exec, s[20:21]
	s_cbranch_execnz .LBB6_280
; %bb.60:
	s_andn2_saveexec_b64 s[4:5], s[20:21]
	s_cbranch_execnz .LBB6_283
.LBB6_61:
	s_or_b64 exec, exec, s[4:5]
	s_and_saveexec_b64 s[4:5], s[18:19]
	s_xor_b64 s[4:5], exec, s[4:5]
	s_cbranch_execnz .LBB6_284
.LBB6_62:
	s_or_b64 exec, exec, s[4:5]
	s_and_saveexec_b64 s[4:5], s[14:15]
	s_cbranch_execz .LBB6_64
.LBB6_63:
	global_load_dword v2, v[2:3], off offset:4
	s_waitcnt vmcnt(0)
	v_alignbit_b32 v2, v2, v14, 30
	v_and_b32_e32 v15, 7, v2
.LBB6_64:
	s_or_b64 exec, exec, s[4:5]
	v_bfe_u32 v2, v12, 27, 3
	v_sub_u32_e32 v3, s24, v15
	v_add_u32_e32 v2, v3, v2
	v_cvt_f32_i32_e32 v2, v2
	s_load_dword s14, s[6:7], 0x28
	v_mov_b32_e32 v3, s9
	v_add_co_u32_e64 v0, s[4:5], s8, v0
	v_cvt_f16_f32_e32 v2, v2
	v_addc_co_u32_e64 v1, s[4:5], v1, v3, s[4:5]
	s_waitcnt lgkmcnt(0)
	s_mul_i32 s4, s14, s16
	s_waitcnt vmcnt(1)
	v_mul_f16_e32 v2, v13, v2
	global_store_short v[0:1], v2, off
	v_add_u32_e32 v2, s4, v5
	v_ashrrev_i32_e32 v3, 31, v2
	v_lshlrev_b64 v[2:3], 1, v[2:3]
	v_mov_b32_e32 v13, s11
	v_add_co_u32_e64 v2, s[4:5], s10, v2
	v_addc_co_u32_e64 v3, s[4:5], v13, v3, s[4:5]
	s_mul_i32 s4, s26, s14
	s_ashr_i32 s5, s4, 31
	s_lshr_b32 s5, s5, 27
	s_add_i32 s4, s4, s5
	s_ashr_i32 s4, s4, 5
	global_load_ushort v13, v[2:3], off
	v_add_u32_e32 v2, s4, v8
	v_ashrrev_i32_e32 v3, 31, v2
	v_lshlrev_b64 v[2:3], 2, v[2:3]
	s_waitcnt vmcnt(2)
	v_mov_b32_e32 v14, s13
	v_add_co_u32_e64 v2, s[4:5], s12, v2
	v_addc_co_u32_e64 v3, s[4:5], v14, v3, s[4:5]
	global_load_dword v14, v[2:3], off
	v_cmp_lt_i32_e64 s[4:5], 20, v10
	s_mov_b64 s[14:15], 0
	s_mov_b64 s[18:19], 0
                                        ; implicit-def: $vgpr15
	s_and_saveexec_b64 s[20:21], s[4:5]
	s_xor_b64 s[20:21], exec, s[20:21]
	s_cbranch_execnz .LBB6_293
; %bb.65:
	s_andn2_saveexec_b64 s[4:5], s[20:21]
	s_cbranch_execnz .LBB6_296
.LBB6_66:
	s_or_b64 exec, exec, s[4:5]
	s_and_saveexec_b64 s[4:5], s[18:19]
	s_xor_b64 s[4:5], exec, s[4:5]
	s_cbranch_execnz .LBB6_297
.LBB6_67:
	s_or_b64 exec, exec, s[4:5]
	s_and_saveexec_b64 s[4:5], s[14:15]
	s_cbranch_execz .LBB6_69
.LBB6_68:
	global_load_dword v2, v[2:3], off offset:4
	s_waitcnt vmcnt(0)
	v_alignbit_b32 v2, v2, v14, 30
	v_and_b32_e32 v15, 7, v2
.LBB6_69:
	s_or_b64 exec, exec, s[4:5]
	v_alignbit_b32 v2, v11, v12, 30
	v_and_b32_e32 v2, 7, v2
	v_sub_u32_e32 v3, s24, v15
	v_add_u32_e32 v2, v3, v2
	v_cvt_f32_i32_e32 v2, v2
	s_load_dword s14, s[6:7], 0x2c
	v_mov_b32_e32 v3, s9
	v_add_co_u32_e64 v0, s[4:5], s8, v0
	v_cvt_f16_f32_e32 v2, v2
	v_addc_co_u32_e64 v1, s[4:5], v1, v3, s[4:5]
	s_waitcnt lgkmcnt(0)
	s_mul_i32 s4, s14, s16
	s_waitcnt vmcnt(1)
	v_mul_f16_e32 v2, v13, v2
	global_store_short v[0:1], v2, off
	v_add_u32_e32 v2, s4, v5
	v_ashrrev_i32_e32 v3, 31, v2
	v_lshlrev_b64 v[2:3], 1, v[2:3]
	v_mov_b32_e32 v12, s11
	v_add_co_u32_e64 v2, s[4:5], s10, v2
	v_addc_co_u32_e64 v3, s[4:5], v12, v3, s[4:5]
	s_mul_i32 s4, s26, s14
	s_ashr_i32 s5, s4, 31
	s_lshr_b32 s5, s5, 27
	s_add_i32 s4, s4, s5
	s_ashr_i32 s4, s4, 5
	global_load_ushort v12, v[2:3], off
	v_add_u32_e32 v2, s4, v8
	v_ashrrev_i32_e32 v3, 31, v2
	v_lshlrev_b64 v[2:3], 2, v[2:3]
	v_mov_b32_e32 v13, s13
	v_add_co_u32_e64 v2, s[4:5], s12, v2
	v_addc_co_u32_e64 v3, s[4:5], v13, v3, s[4:5]
	global_load_dword v13, v[2:3], off
	v_cmp_lt_i32_e64 s[4:5], 20, v10
	s_mov_b64 s[14:15], 0
	s_mov_b64 s[18:19], 0
                                        ; implicit-def: $vgpr14
	s_and_saveexec_b64 s[20:21], s[4:5]
	s_xor_b64 s[20:21], exec, s[20:21]
	s_cbranch_execnz .LBB6_306
; %bb.70:
	s_andn2_saveexec_b64 s[4:5], s[20:21]
	s_cbranch_execnz .LBB6_309
.LBB6_71:
	s_or_b64 exec, exec, s[4:5]
	s_and_saveexec_b64 s[4:5], s[18:19]
	s_xor_b64 s[4:5], exec, s[4:5]
	s_cbranch_execnz .LBB6_310
.LBB6_72:
	s_or_b64 exec, exec, s[4:5]
	s_and_saveexec_b64 s[4:5], s[14:15]
	s_cbranch_execz .LBB6_74
.LBB6_73:
	global_load_dword v2, v[2:3], off offset:4
	s_waitcnt vmcnt(0)
	v_alignbit_b32 v2, v2, v13, 30
	v_and_b32_e32 v14, 7, v2
.LBB6_74:
	s_or_b64 exec, exec, s[4:5]
	v_bfe_u32 v2, v11, 1, 3
	s_waitcnt vmcnt(3)
	v_sub_u32_e32 v3, s24, v14
	v_add_u32_e32 v2, v3, v2
	v_cvt_f32_i32_e32 v2, v2
	s_load_dword s14, s[6:7], 0x30
	v_mov_b32_e32 v3, s9
	v_add_co_u32_e64 v0, s[4:5], s8, v0
	v_cvt_f16_f32_e32 v2, v2
	v_addc_co_u32_e64 v1, s[4:5], v1, v3, s[4:5]
	s_waitcnt lgkmcnt(0)
	s_mul_i32 s4, s14, s16
	s_waitcnt vmcnt(1)
	v_mul_f16_e32 v2, v12, v2
	global_store_short v[0:1], v2, off
	v_add_u32_e32 v2, s4, v5
	v_ashrrev_i32_e32 v3, 31, v2
	v_lshlrev_b64 v[2:3], 1, v[2:3]
	v_mov_b32_e32 v12, s11
	v_add_co_u32_e64 v2, s[4:5], s10, v2
	v_addc_co_u32_e64 v3, s[4:5], v12, v3, s[4:5]
	s_mul_i32 s4, s26, s14
	s_ashr_i32 s5, s4, 31
	s_lshr_b32 s5, s5, 27
	s_add_i32 s4, s4, s5
	s_ashr_i32 s4, s4, 5
	global_load_ushort v12, v[2:3], off
	v_add_u32_e32 v2, s4, v8
	v_ashrrev_i32_e32 v3, 31, v2
	v_lshlrev_b64 v[2:3], 2, v[2:3]
	s_waitcnt vmcnt(2)
	v_mov_b32_e32 v13, s13
	v_add_co_u32_e64 v2, s[4:5], s12, v2
	v_addc_co_u32_e64 v3, s[4:5], v13, v3, s[4:5]
	global_load_dword v13, v[2:3], off
	v_cmp_lt_i32_e64 s[4:5], 20, v10
	s_mov_b64 s[14:15], 0
	s_mov_b64 s[18:19], 0
                                        ; implicit-def: $vgpr14
	s_and_saveexec_b64 s[20:21], s[4:5]
	s_xor_b64 s[20:21], exec, s[20:21]
	s_cbranch_execnz .LBB6_319
; %bb.75:
	s_andn2_saveexec_b64 s[4:5], s[20:21]
	s_cbranch_execnz .LBB6_322
.LBB6_76:
	s_or_b64 exec, exec, s[4:5]
	s_and_saveexec_b64 s[4:5], s[18:19]
	s_xor_b64 s[4:5], exec, s[4:5]
	s_cbranch_execnz .LBB6_323
.LBB6_77:
	s_or_b64 exec, exec, s[4:5]
	s_and_saveexec_b64 s[4:5], s[14:15]
	s_cbranch_execz .LBB6_79
.LBB6_78:
	global_load_dword v2, v[2:3], off offset:4
	s_waitcnt vmcnt(0)
	v_alignbit_b32 v2, v2, v13, 30
	v_and_b32_e32 v14, 7, v2
.LBB6_79:
	s_or_b64 exec, exec, s[4:5]
	v_bfe_u32 v2, v11, 4, 3
	v_sub_u32_e32 v3, s24, v14
	v_add_u32_e32 v2, v3, v2
	v_cvt_f32_i32_e32 v2, v2
	v_mov_b32_e32 v3, s9
	v_add_co_u32_e64 v0, s[4:5], s8, v0
	v_cvt_f16_f32_e32 v2, v2
	v_addc_co_u32_e64 v1, s[4:5], v1, v3, s[4:5]
	s_waitcnt vmcnt(0)
	v_mov_b32_e32 v13, s13
	v_mul_f16_e32 v2, v12, v2
	global_store_short v[0:1], v2, off
	s_load_dword s14, s[6:7], 0x34
	v_mov_b32_e32 v12, s11
	s_mov_b64 s[18:19], 0
                                        ; implicit-def: $vgpr14
	s_waitcnt lgkmcnt(0)
	s_mul_i32 s4, s14, s16
	v_add_u32_e32 v2, s4, v5
	v_ashrrev_i32_e32 v3, 31, v2
	v_lshlrev_b64 v[2:3], 1, v[2:3]
	v_add_co_u32_e64 v2, s[4:5], s10, v2
	v_addc_co_u32_e64 v3, s[4:5], v12, v3, s[4:5]
	s_mul_i32 s4, s26, s14
	s_ashr_i32 s5, s4, 31
	s_lshr_b32 s5, s5, 27
	s_add_i32 s4, s4, s5
	s_ashr_i32 s4, s4, 5
	global_load_ushort v12, v[2:3], off
	v_add_u32_e32 v2, s4, v8
	v_ashrrev_i32_e32 v3, 31, v2
	v_lshlrev_b64 v[2:3], 2, v[2:3]
	v_add_co_u32_e64 v2, s[4:5], s12, v2
	v_addc_co_u32_e64 v3, s[4:5], v13, v3, s[4:5]
	global_load_dword v13, v[2:3], off
	v_cmp_lt_i32_e64 s[4:5], 20, v10
	s_mov_b64 s[14:15], 0
	s_and_saveexec_b64 s[20:21], s[4:5]
	s_xor_b64 s[20:21], exec, s[20:21]
	s_cbranch_execnz .LBB6_332
; %bb.80:
	s_andn2_saveexec_b64 s[4:5], s[20:21]
	s_cbranch_execnz .LBB6_335
.LBB6_81:
	s_or_b64 exec, exec, s[4:5]
	s_and_saveexec_b64 s[4:5], s[18:19]
	s_xor_b64 s[4:5], exec, s[4:5]
	s_cbranch_execnz .LBB6_336
.LBB6_82:
	s_or_b64 exec, exec, s[4:5]
	s_and_saveexec_b64 s[4:5], s[14:15]
	s_cbranch_execz .LBB6_84
.LBB6_83:
	global_load_dword v2, v[2:3], off offset:4
	s_waitcnt vmcnt(0)
	v_alignbit_b32 v2, v2, v13, 30
	v_and_b32_e32 v14, 7, v2
.LBB6_84:
	s_or_b64 exec, exec, s[4:5]
	v_bfe_u32 v2, v11, 7, 3
	v_sub_u32_e32 v3, s24, v14
	v_add_u32_e32 v2, v3, v2
	v_cvt_f32_i32_e32 v2, v2
	v_mov_b32_e32 v3, s9
	v_add_co_u32_e64 v0, s[4:5], s8, v0
	v_cvt_f16_f32_e32 v2, v2
	v_addc_co_u32_e64 v1, s[4:5], v1, v3, s[4:5]
	s_waitcnt vmcnt(0)
	v_mov_b32_e32 v13, s13
	v_mul_f16_e32 v2, v12, v2
	global_store_short v[0:1], v2, off
	s_load_dword s14, s[6:7], 0x38
	v_mov_b32_e32 v12, s11
	s_mov_b64 s[18:19], 0
                                        ; implicit-def: $vgpr14
	s_waitcnt lgkmcnt(0)
	s_mul_i32 s4, s14, s16
	v_add_u32_e32 v2, s4, v5
	v_ashrrev_i32_e32 v3, 31, v2
	v_lshlrev_b64 v[2:3], 1, v[2:3]
	v_add_co_u32_e64 v2, s[4:5], s10, v2
	v_addc_co_u32_e64 v3, s[4:5], v12, v3, s[4:5]
	s_mul_i32 s4, s26, s14
	s_ashr_i32 s5, s4, 31
	s_lshr_b32 s5, s5, 27
	s_add_i32 s4, s4, s5
	s_ashr_i32 s4, s4, 5
	global_load_ushort v12, v[2:3], off
	v_add_u32_e32 v2, s4, v8
	v_ashrrev_i32_e32 v3, 31, v2
	v_lshlrev_b64 v[2:3], 2, v[2:3]
	v_add_co_u32_e64 v2, s[4:5], s12, v2
	v_addc_co_u32_e64 v3, s[4:5], v13, v3, s[4:5]
	global_load_dword v13, v[2:3], off
	v_cmp_lt_i32_e64 s[4:5], 20, v10
	s_mov_b64 s[14:15], 0
	s_and_saveexec_b64 s[20:21], s[4:5]
	s_xor_b64 s[20:21], exec, s[20:21]
	s_cbranch_execnz .LBB6_345
; %bb.85:
	s_andn2_saveexec_b64 s[4:5], s[20:21]
	s_cbranch_execnz .LBB6_348
.LBB6_86:
	s_or_b64 exec, exec, s[4:5]
	s_and_saveexec_b64 s[4:5], s[18:19]
	s_xor_b64 s[4:5], exec, s[4:5]
	s_cbranch_execnz .LBB6_349
.LBB6_87:
	s_or_b64 exec, exec, s[4:5]
	s_and_saveexec_b64 s[4:5], s[14:15]
	s_cbranch_execz .LBB6_89
.LBB6_88:
	global_load_dword v2, v[2:3], off offset:4
	s_waitcnt vmcnt(0)
	v_alignbit_b32 v2, v2, v13, 30
	v_and_b32_e32 v14, 7, v2
.LBB6_89:
	s_or_b64 exec, exec, s[4:5]
	v_bfe_u32 v2, v11, 10, 3
	v_sub_u32_e32 v3, s24, v14
	v_add_u32_e32 v2, v3, v2
	v_cvt_f32_i32_e32 v2, v2
	v_mov_b32_e32 v3, s9
	v_add_co_u32_e64 v0, s[4:5], s8, v0
	v_cvt_f16_f32_e32 v2, v2
	v_addc_co_u32_e64 v1, s[4:5], v1, v3, s[4:5]
	s_waitcnt vmcnt(0)
	v_mov_b32_e32 v13, s13
	v_mul_f16_e32 v2, v12, v2
	global_store_short v[0:1], v2, off
	s_load_dword s14, s[6:7], 0x3c
	v_mov_b32_e32 v12, s11
	s_mov_b64 s[18:19], 0
                                        ; implicit-def: $vgpr14
	s_waitcnt lgkmcnt(0)
	s_mul_i32 s4, s14, s16
	v_add_u32_e32 v2, s4, v5
	v_ashrrev_i32_e32 v3, 31, v2
	v_lshlrev_b64 v[2:3], 1, v[2:3]
	v_add_co_u32_e64 v2, s[4:5], s10, v2
	v_addc_co_u32_e64 v3, s[4:5], v12, v3, s[4:5]
	s_mul_i32 s4, s26, s14
	s_ashr_i32 s5, s4, 31
	s_lshr_b32 s5, s5, 27
	s_add_i32 s4, s4, s5
	s_ashr_i32 s4, s4, 5
	global_load_ushort v12, v[2:3], off
	v_add_u32_e32 v2, s4, v8
	v_ashrrev_i32_e32 v3, 31, v2
	v_lshlrev_b64 v[2:3], 2, v[2:3]
	v_add_co_u32_e64 v2, s[4:5], s12, v2
	v_addc_co_u32_e64 v3, s[4:5], v13, v3, s[4:5]
	global_load_dword v13, v[2:3], off
	v_cmp_lt_i32_e64 s[4:5], 20, v10
	s_mov_b64 s[14:15], 0
	s_and_saveexec_b64 s[20:21], s[4:5]
	s_xor_b64 s[20:21], exec, s[20:21]
	s_cbranch_execnz .LBB6_358
; %bb.90:
	s_andn2_saveexec_b64 s[4:5], s[20:21]
	s_cbranch_execnz .LBB6_361
.LBB6_91:
	s_or_b64 exec, exec, s[4:5]
	s_and_saveexec_b64 s[4:5], s[18:19]
	s_xor_b64 s[4:5], exec, s[4:5]
	s_cbranch_execnz .LBB6_362
.LBB6_92:
	s_or_b64 exec, exec, s[4:5]
	s_and_saveexec_b64 s[4:5], s[14:15]
	s_cbranch_execz .LBB6_94
.LBB6_93:
	global_load_dword v2, v[2:3], off offset:4
	s_waitcnt vmcnt(0)
	v_alignbit_b32 v2, v2, v13, 30
	v_and_b32_e32 v14, 7, v2
.LBB6_94:
	s_or_b64 exec, exec, s[4:5]
	v_bfe_u32 v2, v11, 13, 3
	v_sub_u32_e32 v3, s24, v14
	v_add_u32_e32 v2, v3, v2
	v_cvt_f32_i32_e32 v2, v2
	v_mov_b32_e32 v3, s9
	v_add_co_u32_e64 v0, s[4:5], s8, v0
	v_cvt_f16_f32_e32 v2, v2
	v_addc_co_u32_e64 v1, s[4:5], v1, v3, s[4:5]
	s_waitcnt vmcnt(0)
	v_mov_b32_e32 v13, s13
	v_mul_f16_e32 v2, v12, v2
	global_store_short v[0:1], v2, off
	s_load_dword s14, s[6:7], 0x40
	v_mov_b32_e32 v12, s11
	s_mov_b64 s[18:19], 0
                                        ; implicit-def: $vgpr14
	s_waitcnt lgkmcnt(0)
	s_mul_i32 s4, s14, s16
	v_add_u32_e32 v2, s4, v5
	v_ashrrev_i32_e32 v3, 31, v2
	v_lshlrev_b64 v[2:3], 1, v[2:3]
	v_add_co_u32_e64 v2, s[4:5], s10, v2
	v_addc_co_u32_e64 v3, s[4:5], v12, v3, s[4:5]
	s_mul_i32 s4, s26, s14
	s_ashr_i32 s5, s4, 31
	s_lshr_b32 s5, s5, 27
	s_add_i32 s4, s4, s5
	s_ashr_i32 s4, s4, 5
	global_load_ushort v12, v[2:3], off
	v_add_u32_e32 v2, s4, v8
	v_ashrrev_i32_e32 v3, 31, v2
	v_lshlrev_b64 v[2:3], 2, v[2:3]
	v_add_co_u32_e64 v2, s[4:5], s12, v2
	v_addc_co_u32_e64 v3, s[4:5], v13, v3, s[4:5]
	global_load_dword v13, v[2:3], off
	v_cmp_lt_i32_e64 s[4:5], 20, v10
	s_mov_b64 s[14:15], 0
	s_and_saveexec_b64 s[20:21], s[4:5]
	s_xor_b64 s[20:21], exec, s[20:21]
	s_cbranch_execnz .LBB6_371
; %bb.95:
	s_andn2_saveexec_b64 s[4:5], s[20:21]
	s_cbranch_execnz .LBB6_374
.LBB6_96:
	s_or_b64 exec, exec, s[4:5]
	s_and_saveexec_b64 s[4:5], s[18:19]
	s_xor_b64 s[4:5], exec, s[4:5]
	s_cbranch_execnz .LBB6_375
.LBB6_97:
	s_or_b64 exec, exec, s[4:5]
	s_and_saveexec_b64 s[4:5], s[14:15]
	s_cbranch_execz .LBB6_99
.LBB6_98:
	global_load_dword v2, v[2:3], off offset:4
	s_waitcnt vmcnt(0)
	v_alignbit_b32 v2, v2, v13, 30
	v_and_b32_e32 v14, 7, v2
.LBB6_99:
	s_or_b64 exec, exec, s[4:5]
	v_bfe_u32 v2, v11, 16, 3
	v_sub_u32_e32 v3, s24, v14
	v_add_u32_e32 v2, v3, v2
	v_cvt_f32_i32_e32 v2, v2
	v_mov_b32_e32 v3, s9
	v_add_co_u32_e64 v0, s[4:5], s8, v0
	v_cvt_f16_f32_e32 v2, v2
	v_addc_co_u32_e64 v1, s[4:5], v1, v3, s[4:5]
	s_waitcnt vmcnt(0)
	v_mov_b32_e32 v13, s13
	v_mul_f16_e32 v2, v12, v2
	global_store_short v[0:1], v2, off
	s_load_dword s14, s[6:7], 0x44
	v_mov_b32_e32 v12, s11
	s_mov_b64 s[18:19], 0
                                        ; implicit-def: $vgpr14
	s_waitcnt lgkmcnt(0)
	s_mul_i32 s4, s14, s16
	v_add_u32_e32 v2, s4, v5
	v_ashrrev_i32_e32 v3, 31, v2
	v_lshlrev_b64 v[2:3], 1, v[2:3]
	v_add_co_u32_e64 v2, s[4:5], s10, v2
	v_addc_co_u32_e64 v3, s[4:5], v12, v3, s[4:5]
	s_mul_i32 s4, s26, s14
	s_ashr_i32 s5, s4, 31
	s_lshr_b32 s5, s5, 27
	s_add_i32 s4, s4, s5
	s_ashr_i32 s4, s4, 5
	global_load_ushort v12, v[2:3], off
	v_add_u32_e32 v2, s4, v8
	v_ashrrev_i32_e32 v3, 31, v2
	v_lshlrev_b64 v[2:3], 2, v[2:3]
	v_add_co_u32_e64 v2, s[4:5], s12, v2
	v_addc_co_u32_e64 v3, s[4:5], v13, v3, s[4:5]
	global_load_dword v13, v[2:3], off
	v_cmp_lt_i32_e64 s[4:5], 20, v10
	s_mov_b64 s[14:15], 0
	s_and_saveexec_b64 s[20:21], s[4:5]
	s_xor_b64 s[20:21], exec, s[20:21]
	s_cbranch_execnz .LBB6_384
; %bb.100:
	s_andn2_saveexec_b64 s[4:5], s[20:21]
	s_cbranch_execnz .LBB6_387
.LBB6_101:
	s_or_b64 exec, exec, s[4:5]
	s_and_saveexec_b64 s[4:5], s[18:19]
	s_xor_b64 s[4:5], exec, s[4:5]
	s_cbranch_execnz .LBB6_388
.LBB6_102:
	s_or_b64 exec, exec, s[4:5]
	s_and_saveexec_b64 s[4:5], s[14:15]
	s_cbranch_execz .LBB6_104
.LBB6_103:
	global_load_dword v2, v[2:3], off offset:4
	s_waitcnt vmcnt(0)
	v_alignbit_b32 v2, v2, v13, 30
	v_and_b32_e32 v14, 7, v2
.LBB6_104:
	s_or_b64 exec, exec, s[4:5]
	v_bfe_u32 v2, v11, 19, 3
	v_sub_u32_e32 v3, s24, v14
	v_add_u32_e32 v2, v3, v2
	v_cvt_f32_i32_e32 v2, v2
	v_mov_b32_e32 v3, s9
	v_add_co_u32_e64 v0, s[4:5], s8, v0
	v_cvt_f16_f32_e32 v2, v2
	v_addc_co_u32_e64 v1, s[4:5], v1, v3, s[4:5]
	s_waitcnt vmcnt(0)
	v_mov_b32_e32 v13, s13
	v_mul_f16_e32 v2, v12, v2
	global_store_short v[0:1], v2, off
	s_load_dword s14, s[6:7], 0x48
	v_mov_b32_e32 v12, s11
	s_mov_b64 s[18:19], 0
                                        ; implicit-def: $vgpr14
	s_waitcnt lgkmcnt(0)
	s_mul_i32 s4, s14, s16
	v_add_u32_e32 v2, s4, v5
	v_ashrrev_i32_e32 v3, 31, v2
	v_lshlrev_b64 v[2:3], 1, v[2:3]
	v_add_co_u32_e64 v2, s[4:5], s10, v2
	v_addc_co_u32_e64 v3, s[4:5], v12, v3, s[4:5]
	s_mul_i32 s4, s26, s14
	s_ashr_i32 s5, s4, 31
	s_lshr_b32 s5, s5, 27
	s_add_i32 s4, s4, s5
	s_ashr_i32 s4, s4, 5
	global_load_ushort v12, v[2:3], off
	v_add_u32_e32 v2, s4, v8
	v_ashrrev_i32_e32 v3, 31, v2
	v_lshlrev_b64 v[2:3], 2, v[2:3]
	v_add_co_u32_e64 v2, s[4:5], s12, v2
	v_addc_co_u32_e64 v3, s[4:5], v13, v3, s[4:5]
	global_load_dword v13, v[2:3], off
	v_cmp_lt_i32_e64 s[4:5], 20, v10
	s_mov_b64 s[14:15], 0
	s_and_saveexec_b64 s[20:21], s[4:5]
	s_xor_b64 s[20:21], exec, s[20:21]
	s_cbranch_execnz .LBB6_397
; %bb.105:
	s_andn2_saveexec_b64 s[4:5], s[20:21]
	s_cbranch_execnz .LBB6_400
.LBB6_106:
	s_or_b64 exec, exec, s[4:5]
	s_and_saveexec_b64 s[4:5], s[18:19]
	s_xor_b64 s[4:5], exec, s[4:5]
	s_cbranch_execnz .LBB6_401
.LBB6_107:
	s_or_b64 exec, exec, s[4:5]
	s_and_saveexec_b64 s[4:5], s[14:15]
	s_cbranch_execz .LBB6_109
.LBB6_108:
	global_load_dword v2, v[2:3], off offset:4
	s_waitcnt vmcnt(0)
	v_alignbit_b32 v2, v2, v13, 30
	v_and_b32_e32 v14, 7, v2
.LBB6_109:
	s_or_b64 exec, exec, s[4:5]
	v_bfe_u32 v2, v11, 22, 3
	v_sub_u32_e32 v3, s24, v14
	v_add_u32_e32 v2, v3, v2
	v_cvt_f32_i32_e32 v2, v2
	v_mov_b32_e32 v3, s9
	v_add_co_u32_e64 v0, s[4:5], s8, v0
	v_cvt_f16_f32_e32 v2, v2
	v_addc_co_u32_e64 v1, s[4:5], v1, v3, s[4:5]
	s_waitcnt vmcnt(0)
	v_mov_b32_e32 v13, s13
	v_mul_f16_e32 v2, v12, v2
	global_store_short v[0:1], v2, off
	s_load_dword s14, s[6:7], 0x4c
	v_mov_b32_e32 v12, s11
	s_mov_b64 s[18:19], 0
                                        ; implicit-def: $vgpr14
	s_waitcnt lgkmcnt(0)
	s_mul_i32 s4, s14, s16
	v_add_u32_e32 v2, s4, v5
	v_ashrrev_i32_e32 v3, 31, v2
	v_lshlrev_b64 v[2:3], 1, v[2:3]
	v_add_co_u32_e64 v2, s[4:5], s10, v2
	v_addc_co_u32_e64 v3, s[4:5], v12, v3, s[4:5]
	s_mul_i32 s4, s26, s14
	s_ashr_i32 s5, s4, 31
	s_lshr_b32 s5, s5, 27
	s_add_i32 s4, s4, s5
	s_ashr_i32 s4, s4, 5
	global_load_ushort v12, v[2:3], off
	v_add_u32_e32 v2, s4, v8
	v_ashrrev_i32_e32 v3, 31, v2
	v_lshlrev_b64 v[2:3], 2, v[2:3]
	v_add_co_u32_e64 v2, s[4:5], s12, v2
	v_addc_co_u32_e64 v3, s[4:5], v13, v3, s[4:5]
	global_load_dword v13, v[2:3], off
	v_cmp_lt_i32_e64 s[4:5], 20, v10
	s_mov_b64 s[14:15], 0
	s_and_saveexec_b64 s[20:21], s[4:5]
	s_xor_b64 s[20:21], exec, s[20:21]
	s_cbranch_execnz .LBB6_410
; %bb.110:
	s_andn2_saveexec_b64 s[4:5], s[20:21]
	s_cbranch_execnz .LBB6_413
.LBB6_111:
	s_or_b64 exec, exec, s[4:5]
	s_and_saveexec_b64 s[4:5], s[18:19]
	s_xor_b64 s[4:5], exec, s[4:5]
	s_cbranch_execnz .LBB6_414
.LBB6_112:
	s_or_b64 exec, exec, s[4:5]
	s_and_saveexec_b64 s[4:5], s[14:15]
	s_cbranch_execz .LBB6_114
.LBB6_113:
	global_load_dword v2, v[2:3], off offset:4
	s_waitcnt vmcnt(0)
	v_alignbit_b32 v2, v2, v13, 30
	v_and_b32_e32 v14, 7, v2
.LBB6_114:
	s_or_b64 exec, exec, s[4:5]
	v_bfe_u32 v2, v11, 25, 3
	v_sub_u32_e32 v3, s24, v14
	v_add_u32_e32 v2, v3, v2
	v_cvt_f32_i32_e32 v2, v2
	v_mov_b32_e32 v3, s9
	v_add_co_u32_e64 v0, s[4:5], s8, v0
	v_cvt_f16_f32_e32 v2, v2
	v_addc_co_u32_e64 v1, s[4:5], v1, v3, s[4:5]
	s_waitcnt vmcnt(0)
	v_mov_b32_e32 v13, s13
	v_mul_f16_e32 v2, v12, v2
	global_store_short v[0:1], v2, off
	s_load_dword s14, s[6:7], 0x50
	v_mov_b32_e32 v12, s11
	s_mov_b64 s[18:19], 0
                                        ; implicit-def: $vgpr14
	s_waitcnt lgkmcnt(0)
	s_mul_i32 s4, s14, s16
	v_add_u32_e32 v2, s4, v5
	v_ashrrev_i32_e32 v3, 31, v2
	v_lshlrev_b64 v[2:3], 1, v[2:3]
	v_add_co_u32_e64 v2, s[4:5], s10, v2
	v_addc_co_u32_e64 v3, s[4:5], v12, v3, s[4:5]
	s_mul_i32 s4, s26, s14
	s_ashr_i32 s5, s4, 31
	s_lshr_b32 s5, s5, 27
	s_add_i32 s4, s4, s5
	s_ashr_i32 s4, s4, 5
	global_load_ushort v12, v[2:3], off
	v_add_u32_e32 v2, s4, v8
	v_ashrrev_i32_e32 v3, 31, v2
	v_lshlrev_b64 v[2:3], 2, v[2:3]
	v_add_co_u32_e64 v2, s[4:5], s12, v2
	v_addc_co_u32_e64 v3, s[4:5], v13, v3, s[4:5]
	global_load_dword v13, v[2:3], off
	v_cmp_lt_i32_e64 s[4:5], 20, v10
	s_mov_b64 s[14:15], 0
	s_and_saveexec_b64 s[20:21], s[4:5]
	s_xor_b64 s[20:21], exec, s[20:21]
	s_cbranch_execnz .LBB6_423
; %bb.115:
	s_andn2_saveexec_b64 s[4:5], s[20:21]
	s_cbranch_execnz .LBB6_426
.LBB6_116:
	s_or_b64 exec, exec, s[4:5]
	s_and_saveexec_b64 s[4:5], s[18:19]
	s_xor_b64 s[4:5], exec, s[4:5]
	s_cbranch_execnz .LBB6_427
.LBB6_117:
	s_or_b64 exec, exec, s[4:5]
	s_and_saveexec_b64 s[4:5], s[14:15]
	s_cbranch_execz .LBB6_119
.LBB6_118:
	global_load_dword v2, v[2:3], off offset:4
	s_waitcnt vmcnt(0)
	v_alignbit_b32 v2, v2, v13, 30
	v_and_b32_e32 v14, 7, v2
.LBB6_119:
	s_or_b64 exec, exec, s[4:5]
	v_bfe_u32 v2, v11, 28, 3
	v_sub_u32_e32 v3, s24, v14
	v_add_u32_e32 v2, v3, v2
	v_cvt_f32_i32_e32 v2, v2
	v_mov_b32_e32 v3, s9
	v_add_co_u32_e64 v0, s[4:5], s8, v0
	v_cvt_f16_f32_e32 v2, v2
	v_addc_co_u32_e64 v1, s[4:5], v1, v3, s[4:5]
	s_waitcnt vmcnt(0)
	v_mov_b32_e32 v13, s13
	v_mul_f16_e32 v2, v12, v2
	global_store_short v[0:1], v2, off
	s_load_dword s14, s[6:7], 0x54
	v_mov_b32_e32 v12, s11
	s_mov_b64 s[18:19], 0
                                        ; implicit-def: $vgpr14
	s_waitcnt lgkmcnt(0)
	s_mul_i32 s4, s14, s16
	v_add_u32_e32 v2, s4, v5
	v_ashrrev_i32_e32 v3, 31, v2
	v_lshlrev_b64 v[2:3], 1, v[2:3]
	v_add_co_u32_e64 v2, s[4:5], s10, v2
	v_addc_co_u32_e64 v3, s[4:5], v12, v3, s[4:5]
	s_mul_i32 s4, s26, s14
	s_ashr_i32 s5, s4, 31
	s_lshr_b32 s5, s5, 27
	s_add_i32 s4, s4, s5
	s_ashr_i32 s4, s4, 5
	global_load_ushort v12, v[2:3], off
	v_add_u32_e32 v2, s4, v8
	v_ashrrev_i32_e32 v3, 31, v2
	v_lshlrev_b64 v[2:3], 2, v[2:3]
	v_add_co_u32_e64 v2, s[4:5], s12, v2
	v_addc_co_u32_e64 v3, s[4:5], v13, v3, s[4:5]
	global_load_dword v13, v[2:3], off
	v_cmp_lt_i32_e64 s[4:5], 20, v10
	s_mov_b64 s[14:15], 0
	s_and_saveexec_b64 s[20:21], s[4:5]
	s_xor_b64 s[20:21], exec, s[20:21]
	s_cbranch_execnz .LBB6_436
; %bb.120:
	s_andn2_saveexec_b64 s[4:5], s[20:21]
	s_cbranch_execnz .LBB6_439
.LBB6_121:
	s_or_b64 exec, exec, s[4:5]
	s_and_saveexec_b64 s[4:5], s[18:19]
	s_xor_b64 s[4:5], exec, s[4:5]
	s_cbranch_execnz .LBB6_440
.LBB6_122:
	s_or_b64 exec, exec, s[4:5]
	s_and_saveexec_b64 s[4:5], s[14:15]
	s_cbranch_execz .LBB6_124
.LBB6_123:
	global_load_dword v2, v[2:3], off offset:4
	s_waitcnt vmcnt(0)
	v_alignbit_b32 v2, v2, v13, 30
	v_and_b32_e32 v14, 7, v2
.LBB6_124:
	s_or_b64 exec, exec, s[4:5]
	v_alignbit_b32 v2, v4, v11, 31
	v_and_b32_e32 v2, 7, v2
	v_sub_u32_e32 v3, s24, v14
	v_add_u32_e32 v2, v3, v2
	v_cvt_f32_i32_e32 v2, v2
	v_mov_b32_e32 v3, s9
	v_add_co_u32_e64 v0, s[4:5], s8, v0
	v_cvt_f16_f32_e32 v2, v2
	v_addc_co_u32_e64 v1, s[4:5], v1, v3, s[4:5]
	v_mov_b32_e32 v11, s11
	s_waitcnt vmcnt(1)
	v_mul_f16_e32 v2, v12, v2
	global_store_short v[0:1], v2, off
	s_load_dword s14, s[6:7], 0x58
	v_mov_b32_e32 v12, s13
	s_mov_b64 s[18:19], 0
                                        ; implicit-def: $vgpr13
	s_waitcnt lgkmcnt(0)
	s_mul_i32 s4, s14, s16
	v_add_u32_e32 v2, s4, v5
	v_ashrrev_i32_e32 v3, 31, v2
	v_lshlrev_b64 v[2:3], 1, v[2:3]
	v_add_co_u32_e64 v2, s[4:5], s10, v2
	v_addc_co_u32_e64 v3, s[4:5], v11, v3, s[4:5]
	s_mul_i32 s4, s26, s14
	s_ashr_i32 s5, s4, 31
	s_lshr_b32 s5, s5, 27
	s_add_i32 s4, s4, s5
	s_ashr_i32 s4, s4, 5
	global_load_ushort v11, v[2:3], off
	v_add_u32_e32 v2, s4, v8
	v_ashrrev_i32_e32 v3, 31, v2
	v_lshlrev_b64 v[2:3], 2, v[2:3]
	v_add_co_u32_e64 v2, s[4:5], s12, v2
	v_addc_co_u32_e64 v3, s[4:5], v12, v3, s[4:5]
	global_load_dword v12, v[2:3], off
	v_cmp_lt_i32_e64 s[4:5], 20, v10
	s_mov_b64 s[14:15], 0
	s_and_saveexec_b64 s[20:21], s[4:5]
	s_xor_b64 s[20:21], exec, s[20:21]
	s_cbranch_execnz .LBB6_449
; %bb.125:
	s_andn2_saveexec_b64 s[4:5], s[20:21]
	s_cbranch_execnz .LBB6_452
.LBB6_126:
	s_or_b64 exec, exec, s[4:5]
	s_and_saveexec_b64 s[4:5], s[18:19]
	s_xor_b64 s[4:5], exec, s[4:5]
	s_cbranch_execnz .LBB6_453
.LBB6_127:
	s_or_b64 exec, exec, s[4:5]
	s_and_saveexec_b64 s[4:5], s[14:15]
	s_cbranch_execz .LBB6_129
.LBB6_128:
	global_load_dword v2, v[2:3], off offset:4
	s_waitcnt vmcnt(0)
	v_alignbit_b32 v2, v2, v12, 30
	v_and_b32_e32 v13, 7, v2
.LBB6_129:
	s_or_b64 exec, exec, s[4:5]
	v_bfe_u32 v2, v4, 2, 3
	s_waitcnt vmcnt(3)
	v_sub_u32_e32 v3, s24, v13
	v_add_u32_e32 v2, v3, v2
	v_cvt_f32_i32_e32 v2, v2
	v_mov_b32_e32 v3, s9
	v_add_co_u32_e64 v0, s[4:5], s8, v0
	v_cvt_f16_f32_e32 v2, v2
	v_addc_co_u32_e64 v1, s[4:5], v1, v3, s[4:5]
	s_waitcnt vmcnt(0)
	v_mov_b32_e32 v12, s13
	v_mul_f16_e32 v2, v11, v2
	global_store_short v[0:1], v2, off
	s_load_dword s14, s[6:7], 0x5c
	v_mov_b32_e32 v11, s11
	s_mov_b64 s[18:19], 0
                                        ; implicit-def: $vgpr13
	s_waitcnt lgkmcnt(0)
	s_mul_i32 s4, s14, s16
	v_add_u32_e32 v2, s4, v5
	v_ashrrev_i32_e32 v3, 31, v2
	v_lshlrev_b64 v[2:3], 1, v[2:3]
	v_add_co_u32_e64 v2, s[4:5], s10, v2
	v_addc_co_u32_e64 v3, s[4:5], v11, v3, s[4:5]
	s_mul_i32 s4, s26, s14
	s_ashr_i32 s5, s4, 31
	s_lshr_b32 s5, s5, 27
	s_add_i32 s4, s4, s5
	s_ashr_i32 s4, s4, 5
	global_load_ushort v11, v[2:3], off
	v_add_u32_e32 v2, s4, v8
	v_ashrrev_i32_e32 v3, 31, v2
	v_lshlrev_b64 v[2:3], 2, v[2:3]
	v_add_co_u32_e64 v2, s[4:5], s12, v2
	v_addc_co_u32_e64 v3, s[4:5], v12, v3, s[4:5]
	global_load_dword v12, v[2:3], off
	v_cmp_lt_i32_e64 s[4:5], 20, v10
	s_mov_b64 s[14:15], 0
	s_and_saveexec_b64 s[20:21], s[4:5]
	s_xor_b64 s[20:21], exec, s[20:21]
	s_cbranch_execnz .LBB6_462
; %bb.130:
	s_andn2_saveexec_b64 s[4:5], s[20:21]
	s_cbranch_execnz .LBB6_465
.LBB6_131:
	s_or_b64 exec, exec, s[4:5]
	s_and_saveexec_b64 s[4:5], s[18:19]
	s_xor_b64 s[4:5], exec, s[4:5]
	s_cbranch_execnz .LBB6_466
.LBB6_132:
	s_or_b64 exec, exec, s[4:5]
	s_and_saveexec_b64 s[4:5], s[14:15]
	s_cbranch_execz .LBB6_134
.LBB6_133:
	global_load_dword v2, v[2:3], off offset:4
	s_waitcnt vmcnt(0)
	v_alignbit_b32 v2, v2, v12, 30
	v_and_b32_e32 v13, 7, v2
.LBB6_134:
	s_or_b64 exec, exec, s[4:5]
	v_bfe_u32 v2, v4, 5, 3
	v_sub_u32_e32 v3, s24, v13
	v_add_u32_e32 v2, v3, v2
	v_cvt_f32_i32_e32 v2, v2
	v_mov_b32_e32 v3, s9
	v_add_co_u32_e64 v0, s[4:5], s8, v0
	v_cvt_f16_f32_e32 v2, v2
	v_addc_co_u32_e64 v1, s[4:5], v1, v3, s[4:5]
	s_waitcnt vmcnt(0)
	v_mov_b32_e32 v12, s13
	v_mul_f16_e32 v2, v11, v2
	global_store_short v[0:1], v2, off
	s_load_dword s14, s[6:7], 0x60
	v_mov_b32_e32 v11, s11
	s_mov_b64 s[18:19], 0
                                        ; implicit-def: $vgpr13
	s_waitcnt lgkmcnt(0)
	s_mul_i32 s4, s14, s16
	v_add_u32_e32 v2, s4, v5
	v_ashrrev_i32_e32 v3, 31, v2
	v_lshlrev_b64 v[2:3], 1, v[2:3]
	v_add_co_u32_e64 v2, s[4:5], s10, v2
	v_addc_co_u32_e64 v3, s[4:5], v11, v3, s[4:5]
	s_mul_i32 s4, s26, s14
	s_ashr_i32 s5, s4, 31
	s_lshr_b32 s5, s5, 27
	s_add_i32 s4, s4, s5
	s_ashr_i32 s4, s4, 5
	global_load_ushort v11, v[2:3], off
	v_add_u32_e32 v2, s4, v8
	v_ashrrev_i32_e32 v3, 31, v2
	v_lshlrev_b64 v[2:3], 2, v[2:3]
	v_add_co_u32_e64 v2, s[4:5], s12, v2
	v_addc_co_u32_e64 v3, s[4:5], v12, v3, s[4:5]
	global_load_dword v12, v[2:3], off
	v_cmp_lt_i32_e64 s[4:5], 20, v10
	s_mov_b64 s[14:15], 0
	s_and_saveexec_b64 s[20:21], s[4:5]
	s_xor_b64 s[20:21], exec, s[20:21]
	s_cbranch_execnz .LBB6_475
; %bb.135:
	s_andn2_saveexec_b64 s[4:5], s[20:21]
	s_cbranch_execnz .LBB6_478
.LBB6_136:
	s_or_b64 exec, exec, s[4:5]
	s_and_saveexec_b64 s[4:5], s[18:19]
	s_xor_b64 s[4:5], exec, s[4:5]
	s_cbranch_execnz .LBB6_479
.LBB6_137:
	s_or_b64 exec, exec, s[4:5]
	s_and_saveexec_b64 s[4:5], s[14:15]
	s_cbranch_execz .LBB6_139
.LBB6_138:
	global_load_dword v2, v[2:3], off offset:4
	s_waitcnt vmcnt(0)
	v_alignbit_b32 v2, v2, v12, 30
	v_and_b32_e32 v13, 7, v2
.LBB6_139:
	s_or_b64 exec, exec, s[4:5]
	v_bfe_u32 v2, v4, 8, 3
	v_sub_u32_e32 v3, s24, v13
	v_add_u32_e32 v2, v3, v2
	v_cvt_f32_i32_e32 v2, v2
	v_mov_b32_e32 v3, s9
	v_add_co_u32_e64 v0, s[4:5], s8, v0
	v_cvt_f16_f32_e32 v2, v2
	v_addc_co_u32_e64 v1, s[4:5], v1, v3, s[4:5]
	s_waitcnt vmcnt(0)
	v_mov_b32_e32 v12, s13
	v_mul_f16_e32 v2, v11, v2
	global_store_short v[0:1], v2, off
	s_load_dword s14, s[6:7], 0x64
	v_mov_b32_e32 v11, s11
	s_mov_b64 s[18:19], 0
                                        ; implicit-def: $vgpr13
	s_waitcnt lgkmcnt(0)
	s_mul_i32 s4, s14, s16
	v_add_u32_e32 v2, s4, v5
	v_ashrrev_i32_e32 v3, 31, v2
	v_lshlrev_b64 v[2:3], 1, v[2:3]
	v_add_co_u32_e64 v2, s[4:5], s10, v2
	v_addc_co_u32_e64 v3, s[4:5], v11, v3, s[4:5]
	s_mul_i32 s4, s26, s14
	s_ashr_i32 s5, s4, 31
	s_lshr_b32 s5, s5, 27
	s_add_i32 s4, s4, s5
	s_ashr_i32 s4, s4, 5
	global_load_ushort v11, v[2:3], off
	v_add_u32_e32 v2, s4, v8
	v_ashrrev_i32_e32 v3, 31, v2
	v_lshlrev_b64 v[2:3], 2, v[2:3]
	v_add_co_u32_e64 v2, s[4:5], s12, v2
	v_addc_co_u32_e64 v3, s[4:5], v12, v3, s[4:5]
	global_load_dword v12, v[2:3], off
	v_cmp_lt_i32_e64 s[4:5], 20, v10
	s_mov_b64 s[14:15], 0
	s_and_saveexec_b64 s[20:21], s[4:5]
	s_xor_b64 s[20:21], exec, s[20:21]
	s_cbranch_execnz .LBB6_488
; %bb.140:
	s_andn2_saveexec_b64 s[4:5], s[20:21]
	s_cbranch_execnz .LBB6_491
.LBB6_141:
	s_or_b64 exec, exec, s[4:5]
	s_and_saveexec_b64 s[4:5], s[18:19]
	s_xor_b64 s[4:5], exec, s[4:5]
	s_cbranch_execnz .LBB6_492
.LBB6_142:
	s_or_b64 exec, exec, s[4:5]
	s_and_saveexec_b64 s[4:5], s[14:15]
	s_cbranch_execz .LBB6_144
.LBB6_143:
	global_load_dword v2, v[2:3], off offset:4
	s_waitcnt vmcnt(0)
	v_alignbit_b32 v2, v2, v12, 30
	v_and_b32_e32 v13, 7, v2
.LBB6_144:
	s_or_b64 exec, exec, s[4:5]
	v_bfe_u32 v2, v4, 11, 3
	v_sub_u32_e32 v3, s24, v13
	v_add_u32_e32 v2, v3, v2
	v_cvt_f32_i32_e32 v2, v2
	v_mov_b32_e32 v3, s9
	v_add_co_u32_e64 v0, s[4:5], s8, v0
	v_cvt_f16_f32_e32 v2, v2
	v_addc_co_u32_e64 v1, s[4:5], v1, v3, s[4:5]
	s_waitcnt vmcnt(0)
	v_mov_b32_e32 v12, s13
	v_mul_f16_e32 v2, v11, v2
	global_store_short v[0:1], v2, off
	s_load_dword s14, s[6:7], 0x68
	v_mov_b32_e32 v11, s11
	s_mov_b64 s[18:19], 0
                                        ; implicit-def: $vgpr13
	s_waitcnt lgkmcnt(0)
	s_mul_i32 s4, s14, s16
	v_add_u32_e32 v2, s4, v5
	v_ashrrev_i32_e32 v3, 31, v2
	v_lshlrev_b64 v[2:3], 1, v[2:3]
	v_add_co_u32_e64 v2, s[4:5], s10, v2
	v_addc_co_u32_e64 v3, s[4:5], v11, v3, s[4:5]
	s_mul_i32 s4, s26, s14
	s_ashr_i32 s5, s4, 31
	s_lshr_b32 s5, s5, 27
	s_add_i32 s4, s4, s5
	s_ashr_i32 s4, s4, 5
	global_load_ushort v11, v[2:3], off
	v_add_u32_e32 v2, s4, v8
	v_ashrrev_i32_e32 v3, 31, v2
	v_lshlrev_b64 v[2:3], 2, v[2:3]
	v_add_co_u32_e64 v2, s[4:5], s12, v2
	v_addc_co_u32_e64 v3, s[4:5], v12, v3, s[4:5]
	global_load_dword v12, v[2:3], off
	v_cmp_lt_i32_e64 s[4:5], 20, v10
	s_mov_b64 s[14:15], 0
	s_and_saveexec_b64 s[20:21], s[4:5]
	s_xor_b64 s[20:21], exec, s[20:21]
	s_cbranch_execnz .LBB6_501
; %bb.145:
	s_andn2_saveexec_b64 s[4:5], s[20:21]
	s_cbranch_execnz .LBB6_504
.LBB6_146:
	s_or_b64 exec, exec, s[4:5]
	s_and_saveexec_b64 s[4:5], s[18:19]
	s_xor_b64 s[4:5], exec, s[4:5]
	s_cbranch_execnz .LBB6_505
.LBB6_147:
	s_or_b64 exec, exec, s[4:5]
	s_and_saveexec_b64 s[4:5], s[14:15]
	s_cbranch_execz .LBB6_149
.LBB6_148:
	global_load_dword v2, v[2:3], off offset:4
	s_waitcnt vmcnt(0)
	v_alignbit_b32 v2, v2, v12, 30
	v_and_b32_e32 v13, 7, v2
.LBB6_149:
	s_or_b64 exec, exec, s[4:5]
	v_bfe_u32 v2, v4, 14, 3
	v_sub_u32_e32 v3, s24, v13
	v_add_u32_e32 v2, v3, v2
	v_cvt_f32_i32_e32 v2, v2
	v_mov_b32_e32 v3, s9
	v_add_co_u32_e64 v0, s[4:5], s8, v0
	v_cvt_f16_f32_e32 v2, v2
	v_addc_co_u32_e64 v1, s[4:5], v1, v3, s[4:5]
	s_waitcnt vmcnt(0)
	v_mov_b32_e32 v12, s13
	v_mul_f16_e32 v2, v11, v2
	global_store_short v[0:1], v2, off
	s_load_dword s14, s[6:7], 0x6c
	v_mov_b32_e32 v11, s11
	s_mov_b64 s[18:19], 0
                                        ; implicit-def: $vgpr13
	s_waitcnt lgkmcnt(0)
	s_mul_i32 s4, s14, s16
	v_add_u32_e32 v2, s4, v5
	v_ashrrev_i32_e32 v3, 31, v2
	v_lshlrev_b64 v[2:3], 1, v[2:3]
	v_add_co_u32_e64 v2, s[4:5], s10, v2
	v_addc_co_u32_e64 v3, s[4:5], v11, v3, s[4:5]
	s_mul_i32 s4, s26, s14
	s_ashr_i32 s5, s4, 31
	s_lshr_b32 s5, s5, 27
	s_add_i32 s4, s4, s5
	s_ashr_i32 s4, s4, 5
	global_load_ushort v11, v[2:3], off
	v_add_u32_e32 v2, s4, v8
	v_ashrrev_i32_e32 v3, 31, v2
	v_lshlrev_b64 v[2:3], 2, v[2:3]
	v_add_co_u32_e64 v2, s[4:5], s12, v2
	v_addc_co_u32_e64 v3, s[4:5], v12, v3, s[4:5]
	global_load_dword v12, v[2:3], off
	v_cmp_lt_i32_e64 s[4:5], 20, v10
	s_mov_b64 s[14:15], 0
	s_and_saveexec_b64 s[20:21], s[4:5]
	s_xor_b64 s[20:21], exec, s[20:21]
	s_cbranch_execnz .LBB6_514
; %bb.150:
	s_andn2_saveexec_b64 s[4:5], s[20:21]
	s_cbranch_execnz .LBB6_517
.LBB6_151:
	s_or_b64 exec, exec, s[4:5]
	s_and_saveexec_b64 s[4:5], s[18:19]
	s_xor_b64 s[4:5], exec, s[4:5]
	s_cbranch_execnz .LBB6_518
.LBB6_152:
	s_or_b64 exec, exec, s[4:5]
	s_and_saveexec_b64 s[4:5], s[14:15]
	s_cbranch_execz .LBB6_154
.LBB6_153:
	global_load_dword v2, v[2:3], off offset:4
	s_waitcnt vmcnt(0)
	v_alignbit_b32 v2, v2, v12, 30
	v_and_b32_e32 v13, 7, v2
.LBB6_154:
	s_or_b64 exec, exec, s[4:5]
	v_bfe_u32 v2, v4, 17, 3
	v_sub_u32_e32 v3, s24, v13
	v_add_u32_e32 v2, v3, v2
	v_cvt_f32_i32_e32 v2, v2
	v_mov_b32_e32 v3, s9
	v_add_co_u32_e64 v0, s[4:5], s8, v0
	v_cvt_f16_f32_e32 v2, v2
	v_addc_co_u32_e64 v1, s[4:5], v1, v3, s[4:5]
	s_waitcnt vmcnt(0)
	v_mov_b32_e32 v12, s13
	v_mul_f16_e32 v2, v11, v2
	global_store_short v[0:1], v2, off
	s_load_dword s14, s[6:7], 0x70
	v_mov_b32_e32 v11, s11
	s_mov_b64 s[18:19], 0
                                        ; implicit-def: $vgpr13
	s_waitcnt lgkmcnt(0)
	s_mul_i32 s4, s14, s16
	v_add_u32_e32 v2, s4, v5
	v_ashrrev_i32_e32 v3, 31, v2
	v_lshlrev_b64 v[2:3], 1, v[2:3]
	v_add_co_u32_e64 v2, s[4:5], s10, v2
	v_addc_co_u32_e64 v3, s[4:5], v11, v3, s[4:5]
	s_mul_i32 s4, s26, s14
	s_ashr_i32 s5, s4, 31
	s_lshr_b32 s5, s5, 27
	s_add_i32 s4, s4, s5
	s_ashr_i32 s4, s4, 5
	global_load_ushort v11, v[2:3], off
	v_add_u32_e32 v2, s4, v8
	v_ashrrev_i32_e32 v3, 31, v2
	v_lshlrev_b64 v[2:3], 2, v[2:3]
	v_add_co_u32_e64 v2, s[4:5], s12, v2
	v_addc_co_u32_e64 v3, s[4:5], v12, v3, s[4:5]
	global_load_dword v12, v[2:3], off
	v_cmp_lt_i32_e64 s[4:5], 20, v10
	s_mov_b64 s[14:15], 0
	s_and_saveexec_b64 s[20:21], s[4:5]
	s_xor_b64 s[20:21], exec, s[20:21]
	s_cbranch_execnz .LBB6_527
; %bb.155:
	s_andn2_saveexec_b64 s[4:5], s[20:21]
	s_cbranch_execnz .LBB6_530
.LBB6_156:
	s_or_b64 exec, exec, s[4:5]
	s_and_saveexec_b64 s[4:5], s[18:19]
	s_xor_b64 s[4:5], exec, s[4:5]
	s_cbranch_execnz .LBB6_531
.LBB6_157:
	s_or_b64 exec, exec, s[4:5]
	s_and_saveexec_b64 s[4:5], s[14:15]
	s_cbranch_execz .LBB6_159
.LBB6_158:
	global_load_dword v2, v[2:3], off offset:4
	s_waitcnt vmcnt(0)
	v_alignbit_b32 v2, v2, v12, 30
	v_and_b32_e32 v13, 7, v2
.LBB6_159:
	s_or_b64 exec, exec, s[4:5]
	v_bfe_u32 v2, v4, 20, 3
	v_sub_u32_e32 v3, s24, v13
	v_add_u32_e32 v2, v3, v2
	v_cvt_f32_i32_e32 v2, v2
	v_mov_b32_e32 v3, s9
	v_add_co_u32_e64 v0, s[4:5], s8, v0
	v_cvt_f16_f32_e32 v2, v2
	v_addc_co_u32_e64 v1, s[4:5], v1, v3, s[4:5]
	s_waitcnt vmcnt(0)
	v_mov_b32_e32 v12, s13
	v_mul_f16_e32 v2, v11, v2
	global_store_short v[0:1], v2, off
	s_load_dword s14, s[6:7], 0x74
	v_mov_b32_e32 v11, s11
	s_mov_b64 s[18:19], 0
                                        ; implicit-def: $vgpr13
	s_waitcnt lgkmcnt(0)
	s_mul_i32 s4, s14, s16
	v_add_u32_e32 v2, s4, v5
	v_ashrrev_i32_e32 v3, 31, v2
	v_lshlrev_b64 v[2:3], 1, v[2:3]
	v_add_co_u32_e64 v2, s[4:5], s10, v2
	v_addc_co_u32_e64 v3, s[4:5], v11, v3, s[4:5]
	s_mul_i32 s4, s26, s14
	s_ashr_i32 s5, s4, 31
	s_lshr_b32 s5, s5, 27
	s_add_i32 s4, s4, s5
	s_ashr_i32 s4, s4, 5
	global_load_ushort v11, v[2:3], off
	v_add_u32_e32 v2, s4, v8
	v_ashrrev_i32_e32 v3, 31, v2
	v_lshlrev_b64 v[2:3], 2, v[2:3]
	v_add_co_u32_e64 v2, s[4:5], s12, v2
	v_addc_co_u32_e64 v3, s[4:5], v12, v3, s[4:5]
	global_load_dword v12, v[2:3], off
	v_cmp_lt_i32_e64 s[4:5], 20, v10
	s_mov_b64 s[14:15], 0
	s_and_saveexec_b64 s[20:21], s[4:5]
	s_xor_b64 s[20:21], exec, s[20:21]
	s_cbranch_execnz .LBB6_540
; %bb.160:
	s_andn2_saveexec_b64 s[4:5], s[20:21]
	s_cbranch_execnz .LBB6_543
.LBB6_161:
	s_or_b64 exec, exec, s[4:5]
	s_and_saveexec_b64 s[4:5], s[18:19]
	s_xor_b64 s[4:5], exec, s[4:5]
	s_cbranch_execnz .LBB6_544
.LBB6_162:
	s_or_b64 exec, exec, s[4:5]
	s_and_saveexec_b64 s[4:5], s[14:15]
	s_cbranch_execz .LBB6_164
.LBB6_163:
	global_load_dword v2, v[2:3], off offset:4
	s_waitcnt vmcnt(0)
	v_alignbit_b32 v2, v2, v12, 30
	v_and_b32_e32 v13, 7, v2
.LBB6_164:
	s_or_b64 exec, exec, s[4:5]
	v_bfe_u32 v2, v4, 23, 3
	v_sub_u32_e32 v3, s24, v13
	v_add_u32_e32 v2, v3, v2
	v_cvt_f32_i32_e32 v2, v2
	v_mov_b32_e32 v3, s9
	v_add_co_u32_e64 v0, s[4:5], s8, v0
	v_cvt_f16_f32_e32 v2, v2
	v_addc_co_u32_e64 v1, s[4:5], v1, v3, s[4:5]
	s_waitcnt vmcnt(0)
	v_mov_b32_e32 v12, s13
	v_mul_f16_e32 v2, v11, v2
	global_store_short v[0:1], v2, off
	s_load_dword s14, s[6:7], 0x78
	v_mov_b32_e32 v11, s11
	s_mov_b64 s[18:19], 0
                                        ; implicit-def: $vgpr13
	s_waitcnt lgkmcnt(0)
	s_mul_i32 s4, s14, s16
	v_add_u32_e32 v2, s4, v5
	v_ashrrev_i32_e32 v3, 31, v2
	v_lshlrev_b64 v[2:3], 1, v[2:3]
	v_add_co_u32_e64 v2, s[4:5], s10, v2
	v_addc_co_u32_e64 v3, s[4:5], v11, v3, s[4:5]
	s_mul_i32 s4, s26, s14
	s_ashr_i32 s5, s4, 31
	s_lshr_b32 s5, s5, 27
	s_add_i32 s4, s4, s5
	s_ashr_i32 s4, s4, 5
	global_load_ushort v11, v[2:3], off
	v_add_u32_e32 v2, s4, v8
	v_ashrrev_i32_e32 v3, 31, v2
	v_lshlrev_b64 v[2:3], 2, v[2:3]
	v_add_co_u32_e64 v2, s[4:5], s12, v2
	v_addc_co_u32_e64 v3, s[4:5], v12, v3, s[4:5]
	global_load_dword v12, v[2:3], off
	v_cmp_lt_i32_e64 s[4:5], 20, v10
	s_mov_b64 s[14:15], 0
	s_and_saveexec_b64 s[20:21], s[4:5]
	s_xor_b64 s[20:21], exec, s[20:21]
	s_cbranch_execnz .LBB6_553
; %bb.165:
	s_andn2_saveexec_b64 s[4:5], s[20:21]
	s_cbranch_execnz .LBB6_556
.LBB6_166:
	s_or_b64 exec, exec, s[4:5]
	s_and_saveexec_b64 s[4:5], s[18:19]
	s_xor_b64 s[4:5], exec, s[4:5]
	s_cbranch_execnz .LBB6_557
.LBB6_167:
	s_or_b64 exec, exec, s[4:5]
	s_and_saveexec_b64 s[4:5], s[14:15]
	s_cbranch_execz .LBB6_169
.LBB6_168:
	global_load_dword v2, v[2:3], off offset:4
	s_waitcnt vmcnt(0)
	v_alignbit_b32 v2, v2, v12, 30
	v_and_b32_e32 v13, 7, v2
.LBB6_169:
	s_or_b64 exec, exec, s[4:5]
	v_bfe_u32 v2, v4, 26, 3
	v_sub_u32_e32 v3, s24, v13
	v_add_u32_e32 v2, v3, v2
	v_cvt_f32_i32_e32 v2, v2
	v_mov_b32_e32 v3, s9
	v_add_co_u32_e64 v0, s[4:5], s8, v0
	v_cvt_f16_f32_e32 v2, v2
	v_addc_co_u32_e64 v1, s[4:5], v1, v3, s[4:5]
	s_waitcnt vmcnt(1)
	v_mul_f16_e32 v2, v11, v2
	global_store_short v[0:1], v2, off
	s_load_dword s6, s[6:7], 0x7c
	v_mov_b32_e32 v11, s11
	s_waitcnt lgkmcnt(0)
	s_mul_i32 s4, s6, s16
	v_add_u32_e32 v2, s4, v5
	v_ashrrev_i32_e32 v3, 31, v2
	v_lshlrev_b64 v[2:3], 1, v[2:3]
	v_add_co_u32_e64 v2, s[4:5], s10, v2
	v_addc_co_u32_e64 v3, s[4:5], v11, v3, s[4:5]
	s_mul_i32 s4, s26, s6
	s_ashr_i32 s5, s4, 31
	s_lshr_b32 s5, s5, 27
	s_add_i32 s4, s4, s5
	s_ashr_i32 s4, s4, 5
	global_load_ushort v5, v[2:3], off
	v_add_u32_e32 v2, s4, v8
	v_ashrrev_i32_e32 v3, 31, v2
	v_lshlrev_b64 v[2:3], 2, v[2:3]
	v_mov_b32_e32 v8, s13
	v_add_co_u32_e64 v2, s[4:5], s12, v2
	v_addc_co_u32_e64 v3, s[4:5], v8, v3, s[4:5]
	global_load_dword v8, v[2:3], off
	v_cmp_lt_i32_e64 s[4:5], 20, v10
	s_mov_b64 s[6:7], 0
	s_mov_b64 s[10:11], 0
                                        ; implicit-def: $vgpr11
	s_and_saveexec_b64 s[12:13], s[4:5]
	s_xor_b64 s[12:13], exec, s[12:13]
	s_cbranch_execnz .LBB6_566
; %bb.170:
	s_andn2_saveexec_b64 s[4:5], s[12:13]
	s_cbranch_execnz .LBB6_569
.LBB6_171:
	s_or_b64 exec, exec, s[4:5]
	s_and_saveexec_b64 s[2:3], s[10:11]
	s_xor_b64 s[2:3], exec, s[2:3]
	s_cbranch_execnz .LBB6_570
.LBB6_172:
	s_or_b64 exec, exec, s[2:3]
	s_and_saveexec_b64 s[0:1], s[6:7]
	s_cbranch_execz .LBB6_174
.LBB6_173:
	global_load_dword v2, v[2:3], off offset:4
	s_waitcnt vmcnt(0)
	v_alignbit_b32 v2, v2, v8, 30
	v_and_b32_e32 v11, 7, v2
.LBB6_174:
	s_or_b64 exec, exec, s[0:1]
	v_lshrrev_b32_e32 v2, 29, v4
	v_sub_u32_e32 v3, s24, v11
	v_add_u32_e32 v2, v3, v2
	v_cvt_f32_i32_e32 v2, v2
	v_mov_b32_e32 v3, s9
	v_add_co_u32_e32 v0, vcc, s8, v0
	v_cvt_f16_f32_e32 v2, v2
	v_addc_co_u32_e32 v1, vcc, v1, v3, vcc
	s_waitcnt vmcnt(1)
	v_mul_f16_e32 v2, v5, v2
	global_store_short v[0:1], v2, off
.LBB6_175:
	s_endpgm
.LBB6_176:
	v_cmp_eq_u32_e64 s[4:5], 21, v10
	s_mov_b64 s[14:15], -1
                                        ; implicit-def: $vgpr15
	s_and_saveexec_b64 s[20:21], s[4:5]
	s_cbranch_execz .LBB6_178
; %bb.177:
	global_load_dword v15, v[2:3], off offset:4
	s_xor_b64 s[14:15], exec, -1
	s_waitcnt vmcnt(0)
	v_alignbit_b32 v15, v15, v14, 31
	v_and_b32_e32 v15, 7, v15
.LBB6_178:
	s_or_b64 exec, exec, s[20:21]
	s_and_b64 s[14:15], s[14:15], exec
	s_andn2_saveexec_b64 s[4:5], s[18:19]
	s_cbranch_execz .LBB6_21
.LBB6_179:
	s_andn2_b64 s[14:15], s[14:15], exec
	s_and_b64 s[18:19], s[2:3], exec
	s_mov_b64 s[8:9], exec
	s_or_b64 s[14:15], s[14:15], s[18:19]
                                        ; implicit-def: $vgpr15
	s_or_b64 exec, exec, s[4:5]
	s_and_saveexec_b64 s[4:5], s[14:15]
	s_xor_b64 s[4:5], exec, s[4:5]
	s_cbranch_execz .LBB6_22
.LBB6_180:
                                        ; implicit-def: $vgpr15
	s_and_saveexec_b64 s[14:15], s[0:1]
	s_xor_b64 s[14:15], exec, s[14:15]
	s_cbranch_execz .LBB6_186
; %bb.181:
                                        ; implicit-def: $vgpr15
	s_and_saveexec_b64 s[18:19], vcc
	s_xor_b64 s[18:19], exec, s[18:19]
	s_cbranch_execz .LBB6_183
; %bb.182:
	s_waitcnt vmcnt(0)
	v_bfe_u32 v15, v14, v9, 3
.LBB6_183:
	s_andn2_saveexec_b64 s[18:19], s[18:19]
	s_cbranch_execz .LBB6_185
; %bb.184:
	s_waitcnt vmcnt(0)
	v_bfe_u32 v15, v14, v6, 3
.LBB6_185:
	s_or_b64 exec, exec, s[18:19]
.LBB6_186:
	s_andn2_saveexec_b64 s[14:15], s[14:15]
	s_cbranch_execz .LBB6_188
; %bb.187:
	s_waitcnt vmcnt(0)
	v_bfe_u32 v15, v14, v7, 3
.LBB6_188:
	s_or_b64 exec, exec, s[14:15]
	s_andn2_b64 s[8:9], s[8:9], exec
	s_or_b64 exec, exec, s[4:5]
	s_and_saveexec_b64 s[4:5], s[8:9]
	s_cbranch_execnz .LBB6_23
	s_branch .LBB6_24
.LBB6_189:
	v_cmp_eq_u32_e64 s[4:5], 21, v10
	s_mov_b64 s[18:19], -1
                                        ; implicit-def: $vgpr15
	s_and_saveexec_b64 s[22:23], s[4:5]
	s_cbranch_execz .LBB6_191
; %bb.190:
	global_load_dword v15, v[2:3], off offset:4
	s_xor_b64 s[18:19], exec, -1
	s_waitcnt vmcnt(0)
	v_alignbit_b32 v15, v15, v14, 31
	v_and_b32_e32 v15, 7, v15
.LBB6_191:
	s_or_b64 exec, exec, s[22:23]
	s_and_b64 s[18:19], s[18:19], exec
	s_andn2_saveexec_b64 s[4:5], s[20:21]
	s_cbranch_execz .LBB6_26
.LBB6_192:
	s_andn2_b64 s[18:19], s[18:19], exec
	s_and_b64 s[20:21], s[2:3], exec
	s_mov_b64 s[14:15], exec
	s_or_b64 s[18:19], s[18:19], s[20:21]
                                        ; implicit-def: $vgpr15
	s_or_b64 exec, exec, s[4:5]
	s_and_saveexec_b64 s[4:5], s[18:19]
	s_xor_b64 s[4:5], exec, s[4:5]
	s_cbranch_execz .LBB6_27
.LBB6_193:
                                        ; implicit-def: $vgpr15
	s_and_saveexec_b64 s[18:19], s[0:1]
	s_xor_b64 s[18:19], exec, s[18:19]
	s_cbranch_execz .LBB6_199
; %bb.194:
                                        ; implicit-def: $vgpr15
	s_and_saveexec_b64 s[20:21], vcc
	s_xor_b64 s[20:21], exec, s[20:21]
	s_cbranch_execz .LBB6_196
; %bb.195:
	s_waitcnt vmcnt(0)
	v_bfe_u32 v15, v14, v9, 3
.LBB6_196:
	s_andn2_saveexec_b64 s[20:21], s[20:21]
	s_cbranch_execz .LBB6_198
; %bb.197:
	s_waitcnt vmcnt(0)
	v_bfe_u32 v15, v14, v6, 3
.LBB6_198:
	s_or_b64 exec, exec, s[20:21]
.LBB6_199:
	s_andn2_saveexec_b64 s[18:19], s[18:19]
	s_cbranch_execz .LBB6_201
; %bb.200:
	s_waitcnt vmcnt(0)
	v_bfe_u32 v15, v14, v7, 3
.LBB6_201:
	s_or_b64 exec, exec, s[18:19]
	s_andn2_b64 s[14:15], s[14:15], exec
	s_or_b64 exec, exec, s[4:5]
	s_and_saveexec_b64 s[4:5], s[14:15]
	s_cbranch_execnz .LBB6_28
	s_branch .LBB6_29
.LBB6_202:
	v_cmp_eq_u32_e64 s[4:5], 21, v10
	s_mov_b64 s[18:19], -1
                                        ; implicit-def: $vgpr15
	s_and_saveexec_b64 s[22:23], s[4:5]
	s_cbranch_execz .LBB6_204
; %bb.203:
	global_load_dword v15, v[2:3], off offset:4
	s_xor_b64 s[18:19], exec, -1
	s_waitcnt vmcnt(0)
	v_alignbit_b32 v15, v15, v14, 31
	v_and_b32_e32 v15, 7, v15
.LBB6_204:
	s_or_b64 exec, exec, s[22:23]
	s_and_b64 s[18:19], s[18:19], exec
	s_andn2_saveexec_b64 s[4:5], s[20:21]
	s_cbranch_execz .LBB6_31
.LBB6_205:
	s_andn2_b64 s[18:19], s[18:19], exec
	s_and_b64 s[20:21], s[2:3], exec
	s_mov_b64 s[14:15], exec
	s_or_b64 s[18:19], s[18:19], s[20:21]
                                        ; implicit-def: $vgpr15
	s_or_b64 exec, exec, s[4:5]
	s_and_saveexec_b64 s[4:5], s[18:19]
	s_xor_b64 s[4:5], exec, s[4:5]
	s_cbranch_execz .LBB6_32
.LBB6_206:
                                        ; implicit-def: $vgpr15
	s_and_saveexec_b64 s[18:19], s[0:1]
	s_xor_b64 s[18:19], exec, s[18:19]
	s_cbranch_execz .LBB6_212
; %bb.207:
                                        ; implicit-def: $vgpr15
	s_and_saveexec_b64 s[20:21], vcc
	s_xor_b64 s[20:21], exec, s[20:21]
	s_cbranch_execz .LBB6_209
; %bb.208:
	s_waitcnt vmcnt(0)
	v_bfe_u32 v15, v14, v9, 3
.LBB6_209:
	s_andn2_saveexec_b64 s[20:21], s[20:21]
	s_cbranch_execz .LBB6_211
; %bb.210:
	s_waitcnt vmcnt(0)
	v_bfe_u32 v15, v14, v6, 3
.LBB6_211:
	s_or_b64 exec, exec, s[20:21]
.LBB6_212:
	s_andn2_saveexec_b64 s[18:19], s[18:19]
	s_cbranch_execz .LBB6_214
; %bb.213:
	s_waitcnt vmcnt(0)
	v_bfe_u32 v15, v14, v7, 3
.LBB6_214:
	s_or_b64 exec, exec, s[18:19]
	s_andn2_b64 s[14:15], s[14:15], exec
	s_or_b64 exec, exec, s[4:5]
	s_and_saveexec_b64 s[4:5], s[14:15]
	s_cbranch_execnz .LBB6_33
	s_branch .LBB6_34
.LBB6_215:
	v_cmp_eq_u32_e64 s[4:5], 21, v10
	s_mov_b64 s[18:19], -1
                                        ; implicit-def: $vgpr15
	s_and_saveexec_b64 s[22:23], s[4:5]
	s_cbranch_execz .LBB6_217
; %bb.216:
	global_load_dword v15, v[2:3], off offset:4
	s_xor_b64 s[18:19], exec, -1
	s_waitcnt vmcnt(0)
	v_alignbit_b32 v15, v15, v14, 31
	v_and_b32_e32 v15, 7, v15
.LBB6_217:
	s_or_b64 exec, exec, s[22:23]
	s_and_b64 s[18:19], s[18:19], exec
	s_andn2_saveexec_b64 s[4:5], s[20:21]
	s_cbranch_execz .LBB6_36
.LBB6_218:
	s_andn2_b64 s[18:19], s[18:19], exec
	s_and_b64 s[20:21], s[2:3], exec
	s_mov_b64 s[14:15], exec
	s_or_b64 s[18:19], s[18:19], s[20:21]
                                        ; implicit-def: $vgpr15
	s_or_b64 exec, exec, s[4:5]
	s_and_saveexec_b64 s[4:5], s[18:19]
	s_xor_b64 s[4:5], exec, s[4:5]
	s_cbranch_execz .LBB6_37
.LBB6_219:
                                        ; implicit-def: $vgpr15
	s_and_saveexec_b64 s[18:19], s[0:1]
	s_xor_b64 s[18:19], exec, s[18:19]
	s_cbranch_execz .LBB6_225
; %bb.220:
                                        ; implicit-def: $vgpr15
	s_and_saveexec_b64 s[20:21], vcc
	s_xor_b64 s[20:21], exec, s[20:21]
	s_cbranch_execz .LBB6_222
; %bb.221:
	s_waitcnt vmcnt(0)
	v_bfe_u32 v15, v14, v9, 3
.LBB6_222:
	s_andn2_saveexec_b64 s[20:21], s[20:21]
	s_cbranch_execz .LBB6_224
; %bb.223:
	s_waitcnt vmcnt(0)
	v_bfe_u32 v15, v14, v6, 3
.LBB6_224:
	s_or_b64 exec, exec, s[20:21]
.LBB6_225:
	s_andn2_saveexec_b64 s[18:19], s[18:19]
	s_cbranch_execz .LBB6_227
; %bb.226:
	s_waitcnt vmcnt(0)
	v_bfe_u32 v15, v14, v7, 3
.LBB6_227:
	s_or_b64 exec, exec, s[18:19]
	s_andn2_b64 s[14:15], s[14:15], exec
	s_or_b64 exec, exec, s[4:5]
	s_and_saveexec_b64 s[4:5], s[14:15]
	s_cbranch_execnz .LBB6_38
	s_branch .LBB6_39
.LBB6_228:
	v_cmp_eq_u32_e64 s[4:5], 21, v10
	s_mov_b64 s[18:19], -1
                                        ; implicit-def: $vgpr15
	s_and_saveexec_b64 s[22:23], s[4:5]
	s_cbranch_execz .LBB6_230
; %bb.229:
	global_load_dword v15, v[2:3], off offset:4
	s_xor_b64 s[18:19], exec, -1
	s_waitcnt vmcnt(0)
	v_alignbit_b32 v15, v15, v14, 31
	v_and_b32_e32 v15, 7, v15
.LBB6_230:
	s_or_b64 exec, exec, s[22:23]
	s_and_b64 s[18:19], s[18:19], exec
	s_andn2_saveexec_b64 s[4:5], s[20:21]
	s_cbranch_execz .LBB6_41
.LBB6_231:
	s_andn2_b64 s[18:19], s[18:19], exec
	s_and_b64 s[20:21], s[2:3], exec
	s_mov_b64 s[14:15], exec
	s_or_b64 s[18:19], s[18:19], s[20:21]
                                        ; implicit-def: $vgpr15
	s_or_b64 exec, exec, s[4:5]
	s_and_saveexec_b64 s[4:5], s[18:19]
	s_xor_b64 s[4:5], exec, s[4:5]
	s_cbranch_execz .LBB6_42
.LBB6_232:
                                        ; implicit-def: $vgpr15
	s_and_saveexec_b64 s[18:19], s[0:1]
	s_xor_b64 s[18:19], exec, s[18:19]
	s_cbranch_execz .LBB6_238
; %bb.233:
                                        ; implicit-def: $vgpr15
	s_and_saveexec_b64 s[20:21], vcc
	s_xor_b64 s[20:21], exec, s[20:21]
	s_cbranch_execz .LBB6_235
; %bb.234:
	s_waitcnt vmcnt(0)
	v_bfe_u32 v15, v14, v9, 3
.LBB6_235:
	s_andn2_saveexec_b64 s[20:21], s[20:21]
	s_cbranch_execz .LBB6_237
; %bb.236:
	s_waitcnt vmcnt(0)
	v_bfe_u32 v15, v14, v6, 3
.LBB6_237:
	s_or_b64 exec, exec, s[20:21]
.LBB6_238:
	s_andn2_saveexec_b64 s[18:19], s[18:19]
	s_cbranch_execz .LBB6_240
; %bb.239:
	s_waitcnt vmcnt(0)
	v_bfe_u32 v15, v14, v7, 3
.LBB6_240:
	s_or_b64 exec, exec, s[18:19]
	s_andn2_b64 s[14:15], s[14:15], exec
	s_or_b64 exec, exec, s[4:5]
	s_and_saveexec_b64 s[4:5], s[14:15]
	s_cbranch_execnz .LBB6_43
	s_branch .LBB6_44
.LBB6_241:
	v_cmp_eq_u32_e64 s[4:5], 21, v10
	s_mov_b64 s[18:19], -1
                                        ; implicit-def: $vgpr15
	s_and_saveexec_b64 s[22:23], s[4:5]
	s_cbranch_execz .LBB6_243
; %bb.242:
	global_load_dword v15, v[2:3], off offset:4
	s_xor_b64 s[18:19], exec, -1
	s_waitcnt vmcnt(0)
	v_alignbit_b32 v15, v15, v14, 31
	v_and_b32_e32 v15, 7, v15
.LBB6_243:
	s_or_b64 exec, exec, s[22:23]
	s_and_b64 s[18:19], s[18:19], exec
	s_andn2_saveexec_b64 s[4:5], s[20:21]
	s_cbranch_execz .LBB6_46
.LBB6_244:
	s_andn2_b64 s[18:19], s[18:19], exec
	s_and_b64 s[20:21], s[2:3], exec
	s_mov_b64 s[14:15], exec
	s_or_b64 s[18:19], s[18:19], s[20:21]
                                        ; implicit-def: $vgpr15
	s_or_b64 exec, exec, s[4:5]
	s_and_saveexec_b64 s[4:5], s[18:19]
	s_xor_b64 s[4:5], exec, s[4:5]
	s_cbranch_execz .LBB6_47
.LBB6_245:
                                        ; implicit-def: $vgpr15
	s_and_saveexec_b64 s[18:19], s[0:1]
	s_xor_b64 s[18:19], exec, s[18:19]
	s_cbranch_execz .LBB6_251
; %bb.246:
                                        ; implicit-def: $vgpr15
	s_and_saveexec_b64 s[20:21], vcc
	s_xor_b64 s[20:21], exec, s[20:21]
	s_cbranch_execz .LBB6_248
; %bb.247:
	s_waitcnt vmcnt(0)
	v_bfe_u32 v15, v14, v9, 3
.LBB6_248:
	s_andn2_saveexec_b64 s[20:21], s[20:21]
	s_cbranch_execz .LBB6_250
; %bb.249:
	s_waitcnt vmcnt(0)
	v_bfe_u32 v15, v14, v6, 3
.LBB6_250:
	s_or_b64 exec, exec, s[20:21]
.LBB6_251:
	s_andn2_saveexec_b64 s[18:19], s[18:19]
	s_cbranch_execz .LBB6_253
; %bb.252:
	s_waitcnt vmcnt(0)
	v_bfe_u32 v15, v14, v7, 3
.LBB6_253:
	s_or_b64 exec, exec, s[18:19]
	s_andn2_b64 s[14:15], s[14:15], exec
	s_or_b64 exec, exec, s[4:5]
	s_and_saveexec_b64 s[4:5], s[14:15]
	s_cbranch_execnz .LBB6_48
	s_branch .LBB6_49
.LBB6_254:
	v_cmp_eq_u32_e64 s[4:5], 21, v10
	s_mov_b64 s[18:19], -1
                                        ; implicit-def: $vgpr15
	s_and_saveexec_b64 s[22:23], s[4:5]
	s_cbranch_execz .LBB6_256
; %bb.255:
	global_load_dword v15, v[2:3], off offset:4
	s_xor_b64 s[18:19], exec, -1
	s_waitcnt vmcnt(0)
	v_alignbit_b32 v15, v15, v14, 31
	v_and_b32_e32 v15, 7, v15
.LBB6_256:
	s_or_b64 exec, exec, s[22:23]
	s_and_b64 s[18:19], s[18:19], exec
	s_andn2_saveexec_b64 s[4:5], s[20:21]
	s_cbranch_execz .LBB6_51
.LBB6_257:
	s_andn2_b64 s[18:19], s[18:19], exec
	s_and_b64 s[20:21], s[2:3], exec
	s_mov_b64 s[14:15], exec
	s_or_b64 s[18:19], s[18:19], s[20:21]
                                        ; implicit-def: $vgpr15
	s_or_b64 exec, exec, s[4:5]
	s_and_saveexec_b64 s[4:5], s[18:19]
	s_xor_b64 s[4:5], exec, s[4:5]
	s_cbranch_execz .LBB6_52
.LBB6_258:
                                        ; implicit-def: $vgpr15
	s_and_saveexec_b64 s[18:19], s[0:1]
	s_xor_b64 s[18:19], exec, s[18:19]
	s_cbranch_execz .LBB6_264
; %bb.259:
                                        ; implicit-def: $vgpr15
	s_and_saveexec_b64 s[20:21], vcc
	s_xor_b64 s[20:21], exec, s[20:21]
	s_cbranch_execz .LBB6_261
; %bb.260:
	s_waitcnt vmcnt(0)
	v_bfe_u32 v15, v14, v9, 3
.LBB6_261:
	s_andn2_saveexec_b64 s[20:21], s[20:21]
	s_cbranch_execz .LBB6_263
; %bb.262:
	s_waitcnt vmcnt(0)
	v_bfe_u32 v15, v14, v6, 3
.LBB6_263:
	s_or_b64 exec, exec, s[20:21]
.LBB6_264:
	s_andn2_saveexec_b64 s[18:19], s[18:19]
	s_cbranch_execz .LBB6_266
; %bb.265:
	s_waitcnt vmcnt(0)
	v_bfe_u32 v15, v14, v7, 3
.LBB6_266:
	s_or_b64 exec, exec, s[18:19]
	s_andn2_b64 s[14:15], s[14:15], exec
	s_or_b64 exec, exec, s[4:5]
	s_and_saveexec_b64 s[4:5], s[14:15]
	s_cbranch_execnz .LBB6_53
	s_branch .LBB6_54
.LBB6_267:
	v_cmp_eq_u32_e64 s[4:5], 21, v10
	s_mov_b64 s[18:19], -1
                                        ; implicit-def: $vgpr15
	s_and_saveexec_b64 s[22:23], s[4:5]
	s_cbranch_execz .LBB6_269
; %bb.268:
	global_load_dword v15, v[2:3], off offset:4
	s_xor_b64 s[18:19], exec, -1
	s_waitcnt vmcnt(0)
	v_alignbit_b32 v15, v15, v14, 31
	v_and_b32_e32 v15, 7, v15
.LBB6_269:
	s_or_b64 exec, exec, s[22:23]
	s_and_b64 s[18:19], s[18:19], exec
	s_andn2_saveexec_b64 s[4:5], s[20:21]
	s_cbranch_execz .LBB6_56
.LBB6_270:
	s_andn2_b64 s[18:19], s[18:19], exec
	s_and_b64 s[20:21], s[2:3], exec
	s_mov_b64 s[14:15], exec
	s_or_b64 s[18:19], s[18:19], s[20:21]
                                        ; implicit-def: $vgpr15
	s_or_b64 exec, exec, s[4:5]
	s_and_saveexec_b64 s[4:5], s[18:19]
	s_xor_b64 s[4:5], exec, s[4:5]
	s_cbranch_execz .LBB6_57
.LBB6_271:
                                        ; implicit-def: $vgpr15
	s_and_saveexec_b64 s[18:19], s[0:1]
	s_xor_b64 s[18:19], exec, s[18:19]
	s_cbranch_execz .LBB6_277
; %bb.272:
                                        ; implicit-def: $vgpr15
	s_and_saveexec_b64 s[20:21], vcc
	s_xor_b64 s[20:21], exec, s[20:21]
	s_cbranch_execz .LBB6_274
; %bb.273:
	s_waitcnt vmcnt(0)
	v_bfe_u32 v15, v14, v9, 3
.LBB6_274:
	s_andn2_saveexec_b64 s[20:21], s[20:21]
	s_cbranch_execz .LBB6_276
; %bb.275:
	s_waitcnt vmcnt(0)
	v_bfe_u32 v15, v14, v6, 3
.LBB6_276:
	s_or_b64 exec, exec, s[20:21]
.LBB6_277:
	s_andn2_saveexec_b64 s[18:19], s[18:19]
	s_cbranch_execz .LBB6_279
; %bb.278:
	s_waitcnt vmcnt(0)
	v_bfe_u32 v15, v14, v7, 3
.LBB6_279:
	s_or_b64 exec, exec, s[18:19]
	s_andn2_b64 s[14:15], s[14:15], exec
	s_or_b64 exec, exec, s[4:5]
	s_and_saveexec_b64 s[4:5], s[14:15]
	s_cbranch_execnz .LBB6_58
	s_branch .LBB6_59
.LBB6_280:
	v_cmp_eq_u32_e64 s[4:5], 21, v10
	s_mov_b64 s[18:19], -1
                                        ; implicit-def: $vgpr15
	s_and_saveexec_b64 s[22:23], s[4:5]
	s_cbranch_execz .LBB6_282
; %bb.281:
	global_load_dword v15, v[2:3], off offset:4
	s_xor_b64 s[18:19], exec, -1
	s_waitcnt vmcnt(0)
	v_alignbit_b32 v15, v15, v14, 31
	v_and_b32_e32 v15, 7, v15
.LBB6_282:
	s_or_b64 exec, exec, s[22:23]
	s_and_b64 s[18:19], s[18:19], exec
	s_andn2_saveexec_b64 s[4:5], s[20:21]
	s_cbranch_execz .LBB6_61
.LBB6_283:
	s_andn2_b64 s[18:19], s[18:19], exec
	s_and_b64 s[20:21], s[2:3], exec
	s_mov_b64 s[14:15], exec
	s_or_b64 s[18:19], s[18:19], s[20:21]
                                        ; implicit-def: $vgpr15
	s_or_b64 exec, exec, s[4:5]
	s_and_saveexec_b64 s[4:5], s[18:19]
	s_xor_b64 s[4:5], exec, s[4:5]
	s_cbranch_execz .LBB6_62
.LBB6_284:
                                        ; implicit-def: $vgpr15
	s_and_saveexec_b64 s[18:19], s[0:1]
	s_xor_b64 s[18:19], exec, s[18:19]
	s_cbranch_execz .LBB6_290
; %bb.285:
                                        ; implicit-def: $vgpr15
	s_and_saveexec_b64 s[20:21], vcc
	s_xor_b64 s[20:21], exec, s[20:21]
	s_cbranch_execz .LBB6_287
; %bb.286:
	s_waitcnt vmcnt(0)
	v_bfe_u32 v15, v14, v9, 3
.LBB6_287:
	s_andn2_saveexec_b64 s[20:21], s[20:21]
	s_cbranch_execz .LBB6_289
; %bb.288:
	s_waitcnt vmcnt(0)
	v_bfe_u32 v15, v14, v6, 3
.LBB6_289:
	s_or_b64 exec, exec, s[20:21]
.LBB6_290:
	s_andn2_saveexec_b64 s[18:19], s[18:19]
	s_cbranch_execz .LBB6_292
; %bb.291:
	s_waitcnt vmcnt(0)
	v_bfe_u32 v15, v14, v7, 3
.LBB6_292:
	s_or_b64 exec, exec, s[18:19]
	s_andn2_b64 s[14:15], s[14:15], exec
	s_or_b64 exec, exec, s[4:5]
	s_and_saveexec_b64 s[4:5], s[14:15]
	s_cbranch_execnz .LBB6_63
	s_branch .LBB6_64
.LBB6_293:
	v_cmp_eq_u32_e64 s[4:5], 21, v10
	s_mov_b64 s[18:19], -1
                                        ; implicit-def: $vgpr15
	s_and_saveexec_b64 s[22:23], s[4:5]
	s_cbranch_execz .LBB6_295
; %bb.294:
	global_load_dword v15, v[2:3], off offset:4
	s_xor_b64 s[18:19], exec, -1
	s_waitcnt vmcnt(0)
	v_alignbit_b32 v15, v15, v14, 31
	v_and_b32_e32 v15, 7, v15
.LBB6_295:
	s_or_b64 exec, exec, s[22:23]
	s_and_b64 s[18:19], s[18:19], exec
	s_andn2_saveexec_b64 s[4:5], s[20:21]
	s_cbranch_execz .LBB6_66
.LBB6_296:
	s_andn2_b64 s[18:19], s[18:19], exec
	s_and_b64 s[20:21], s[2:3], exec
	s_mov_b64 s[14:15], exec
	s_or_b64 s[18:19], s[18:19], s[20:21]
                                        ; implicit-def: $vgpr15
	s_or_b64 exec, exec, s[4:5]
	s_and_saveexec_b64 s[4:5], s[18:19]
	s_xor_b64 s[4:5], exec, s[4:5]
	s_cbranch_execz .LBB6_67
.LBB6_297:
                                        ; implicit-def: $vgpr15
	s_and_saveexec_b64 s[18:19], s[0:1]
	s_xor_b64 s[18:19], exec, s[18:19]
	s_cbranch_execz .LBB6_303
; %bb.298:
                                        ; implicit-def: $vgpr15
	s_and_saveexec_b64 s[20:21], vcc
	s_xor_b64 s[20:21], exec, s[20:21]
	s_cbranch_execz .LBB6_300
; %bb.299:
	s_waitcnt vmcnt(0)
	v_bfe_u32 v15, v14, v9, 3
.LBB6_300:
	s_andn2_saveexec_b64 s[20:21], s[20:21]
	s_cbranch_execz .LBB6_302
; %bb.301:
	s_waitcnt vmcnt(0)
	v_bfe_u32 v15, v14, v6, 3
.LBB6_302:
	s_or_b64 exec, exec, s[20:21]
.LBB6_303:
	s_andn2_saveexec_b64 s[18:19], s[18:19]
	s_cbranch_execz .LBB6_305
; %bb.304:
	s_waitcnt vmcnt(0)
	v_bfe_u32 v15, v14, v7, 3
.LBB6_305:
	s_or_b64 exec, exec, s[18:19]
	s_andn2_b64 s[14:15], s[14:15], exec
	s_or_b64 exec, exec, s[4:5]
	s_and_saveexec_b64 s[4:5], s[14:15]
	s_cbranch_execnz .LBB6_68
	s_branch .LBB6_69
.LBB6_306:
	v_cmp_eq_u32_e64 s[4:5], 21, v10
	s_mov_b64 s[18:19], -1
                                        ; implicit-def: $vgpr14
	s_and_saveexec_b64 s[22:23], s[4:5]
	s_cbranch_execz .LBB6_308
; %bb.307:
	global_load_dword v14, v[2:3], off offset:4
	s_xor_b64 s[18:19], exec, -1
	s_waitcnt vmcnt(0)
	v_alignbit_b32 v14, v14, v13, 31
	v_and_b32_e32 v14, 7, v14
.LBB6_308:
	s_or_b64 exec, exec, s[22:23]
	s_and_b64 s[18:19], s[18:19], exec
	s_andn2_saveexec_b64 s[4:5], s[20:21]
	s_cbranch_execz .LBB6_71
.LBB6_309:
	s_andn2_b64 s[18:19], s[18:19], exec
	s_and_b64 s[20:21], s[2:3], exec
	s_mov_b64 s[14:15], exec
	s_or_b64 s[18:19], s[18:19], s[20:21]
                                        ; implicit-def: $vgpr14
	s_or_b64 exec, exec, s[4:5]
	s_and_saveexec_b64 s[4:5], s[18:19]
	s_xor_b64 s[4:5], exec, s[4:5]
	s_cbranch_execz .LBB6_72
.LBB6_310:
                                        ; implicit-def: $vgpr14
	s_and_saveexec_b64 s[18:19], s[0:1]
	s_xor_b64 s[18:19], exec, s[18:19]
	s_cbranch_execz .LBB6_316
; %bb.311:
                                        ; implicit-def: $vgpr14
	s_and_saveexec_b64 s[20:21], vcc
	s_xor_b64 s[20:21], exec, s[20:21]
	s_cbranch_execz .LBB6_313
; %bb.312:
	s_waitcnt vmcnt(0)
	v_bfe_u32 v14, v13, v9, 3
.LBB6_313:
	s_andn2_saveexec_b64 s[20:21], s[20:21]
	s_cbranch_execz .LBB6_315
; %bb.314:
	s_waitcnt vmcnt(0)
	v_bfe_u32 v14, v13, v6, 3
.LBB6_315:
	s_or_b64 exec, exec, s[20:21]
.LBB6_316:
	s_andn2_saveexec_b64 s[18:19], s[18:19]
	s_cbranch_execz .LBB6_318
; %bb.317:
	s_waitcnt vmcnt(0)
	v_bfe_u32 v14, v13, v7, 3
.LBB6_318:
	s_or_b64 exec, exec, s[18:19]
	s_andn2_b64 s[14:15], s[14:15], exec
	s_or_b64 exec, exec, s[4:5]
	s_and_saveexec_b64 s[4:5], s[14:15]
	s_cbranch_execnz .LBB6_73
	s_branch .LBB6_74
.LBB6_319:
	v_cmp_eq_u32_e64 s[4:5], 21, v10
	s_mov_b64 s[18:19], -1
                                        ; implicit-def: $vgpr14
	s_and_saveexec_b64 s[22:23], s[4:5]
	s_cbranch_execz .LBB6_321
; %bb.320:
	global_load_dword v14, v[2:3], off offset:4
	s_xor_b64 s[18:19], exec, -1
	s_waitcnt vmcnt(0)
	v_alignbit_b32 v14, v14, v13, 31
	v_and_b32_e32 v14, 7, v14
.LBB6_321:
	s_or_b64 exec, exec, s[22:23]
	s_and_b64 s[18:19], s[18:19], exec
	s_andn2_saveexec_b64 s[4:5], s[20:21]
	s_cbranch_execz .LBB6_76
.LBB6_322:
	s_andn2_b64 s[18:19], s[18:19], exec
	s_and_b64 s[20:21], s[2:3], exec
	s_mov_b64 s[14:15], exec
	s_or_b64 s[18:19], s[18:19], s[20:21]
                                        ; implicit-def: $vgpr14
	s_or_b64 exec, exec, s[4:5]
	s_and_saveexec_b64 s[4:5], s[18:19]
	s_xor_b64 s[4:5], exec, s[4:5]
	s_cbranch_execz .LBB6_77
.LBB6_323:
                                        ; implicit-def: $vgpr14
	s_and_saveexec_b64 s[18:19], s[0:1]
	s_xor_b64 s[18:19], exec, s[18:19]
	s_cbranch_execz .LBB6_329
; %bb.324:
                                        ; implicit-def: $vgpr14
	s_and_saveexec_b64 s[20:21], vcc
	s_xor_b64 s[20:21], exec, s[20:21]
	s_cbranch_execz .LBB6_326
; %bb.325:
	s_waitcnt vmcnt(0)
	v_bfe_u32 v14, v13, v9, 3
.LBB6_326:
	s_andn2_saveexec_b64 s[20:21], s[20:21]
	s_cbranch_execz .LBB6_328
; %bb.327:
	s_waitcnt vmcnt(0)
	v_bfe_u32 v14, v13, v6, 3
.LBB6_328:
	s_or_b64 exec, exec, s[20:21]
.LBB6_329:
	s_andn2_saveexec_b64 s[18:19], s[18:19]
	s_cbranch_execz .LBB6_331
; %bb.330:
	s_waitcnt vmcnt(0)
	v_bfe_u32 v14, v13, v7, 3
.LBB6_331:
	s_or_b64 exec, exec, s[18:19]
	s_andn2_b64 s[14:15], s[14:15], exec
	s_or_b64 exec, exec, s[4:5]
	s_and_saveexec_b64 s[4:5], s[14:15]
	s_cbranch_execnz .LBB6_78
	s_branch .LBB6_79
.LBB6_332:
	v_cmp_eq_u32_e64 s[4:5], 21, v10
	s_mov_b64 s[18:19], -1
                                        ; implicit-def: $vgpr14
	s_and_saveexec_b64 s[22:23], s[4:5]
	s_cbranch_execz .LBB6_334
; %bb.333:
	global_load_dword v14, v[2:3], off offset:4
	s_xor_b64 s[18:19], exec, -1
	s_waitcnt vmcnt(0)
	v_alignbit_b32 v14, v14, v13, 31
	v_and_b32_e32 v14, 7, v14
.LBB6_334:
	s_or_b64 exec, exec, s[22:23]
	s_and_b64 s[18:19], s[18:19], exec
	s_andn2_saveexec_b64 s[4:5], s[20:21]
	s_cbranch_execz .LBB6_81
.LBB6_335:
	s_andn2_b64 s[18:19], s[18:19], exec
	s_and_b64 s[20:21], s[2:3], exec
	s_mov_b64 s[14:15], exec
	s_or_b64 s[18:19], s[18:19], s[20:21]
                                        ; implicit-def: $vgpr14
	s_or_b64 exec, exec, s[4:5]
	s_and_saveexec_b64 s[4:5], s[18:19]
	s_xor_b64 s[4:5], exec, s[4:5]
	s_cbranch_execz .LBB6_82
.LBB6_336:
                                        ; implicit-def: $vgpr14
	s_and_saveexec_b64 s[18:19], s[0:1]
	s_xor_b64 s[18:19], exec, s[18:19]
	s_cbranch_execz .LBB6_342
; %bb.337:
                                        ; implicit-def: $vgpr14
	s_and_saveexec_b64 s[20:21], vcc
	s_xor_b64 s[20:21], exec, s[20:21]
	s_cbranch_execz .LBB6_339
; %bb.338:
	s_waitcnt vmcnt(0)
	v_bfe_u32 v14, v13, v9, 3
.LBB6_339:
	s_andn2_saveexec_b64 s[20:21], s[20:21]
	s_cbranch_execz .LBB6_341
; %bb.340:
	s_waitcnt vmcnt(0)
	v_bfe_u32 v14, v13, v6, 3
.LBB6_341:
	s_or_b64 exec, exec, s[20:21]
.LBB6_342:
	s_andn2_saveexec_b64 s[18:19], s[18:19]
	s_cbranch_execz .LBB6_344
; %bb.343:
	s_waitcnt vmcnt(0)
	v_bfe_u32 v14, v13, v7, 3
.LBB6_344:
	s_or_b64 exec, exec, s[18:19]
	s_andn2_b64 s[14:15], s[14:15], exec
	s_or_b64 exec, exec, s[4:5]
	s_and_saveexec_b64 s[4:5], s[14:15]
	s_cbranch_execnz .LBB6_83
	s_branch .LBB6_84
.LBB6_345:
	v_cmp_eq_u32_e64 s[4:5], 21, v10
	s_mov_b64 s[18:19], -1
                                        ; implicit-def: $vgpr14
	s_and_saveexec_b64 s[22:23], s[4:5]
	s_cbranch_execz .LBB6_347
; %bb.346:
	global_load_dword v14, v[2:3], off offset:4
	s_xor_b64 s[18:19], exec, -1
	s_waitcnt vmcnt(0)
	v_alignbit_b32 v14, v14, v13, 31
	v_and_b32_e32 v14, 7, v14
.LBB6_347:
	s_or_b64 exec, exec, s[22:23]
	s_and_b64 s[18:19], s[18:19], exec
	s_andn2_saveexec_b64 s[4:5], s[20:21]
	s_cbranch_execz .LBB6_86
.LBB6_348:
	s_andn2_b64 s[18:19], s[18:19], exec
	s_and_b64 s[20:21], s[2:3], exec
	s_mov_b64 s[14:15], exec
	s_or_b64 s[18:19], s[18:19], s[20:21]
                                        ; implicit-def: $vgpr14
	s_or_b64 exec, exec, s[4:5]
	s_and_saveexec_b64 s[4:5], s[18:19]
	s_xor_b64 s[4:5], exec, s[4:5]
	s_cbranch_execz .LBB6_87
.LBB6_349:
                                        ; implicit-def: $vgpr14
	s_and_saveexec_b64 s[18:19], s[0:1]
	s_xor_b64 s[18:19], exec, s[18:19]
	s_cbranch_execz .LBB6_355
; %bb.350:
                                        ; implicit-def: $vgpr14
	s_and_saveexec_b64 s[20:21], vcc
	s_xor_b64 s[20:21], exec, s[20:21]
	s_cbranch_execz .LBB6_352
; %bb.351:
	s_waitcnt vmcnt(0)
	v_bfe_u32 v14, v13, v9, 3
.LBB6_352:
	s_andn2_saveexec_b64 s[20:21], s[20:21]
	s_cbranch_execz .LBB6_354
; %bb.353:
	s_waitcnt vmcnt(0)
	v_bfe_u32 v14, v13, v6, 3
.LBB6_354:
	s_or_b64 exec, exec, s[20:21]
.LBB6_355:
	s_andn2_saveexec_b64 s[18:19], s[18:19]
	s_cbranch_execz .LBB6_357
; %bb.356:
	s_waitcnt vmcnt(0)
	v_bfe_u32 v14, v13, v7, 3
.LBB6_357:
	s_or_b64 exec, exec, s[18:19]
	s_andn2_b64 s[14:15], s[14:15], exec
	s_or_b64 exec, exec, s[4:5]
	s_and_saveexec_b64 s[4:5], s[14:15]
	s_cbranch_execnz .LBB6_88
	s_branch .LBB6_89
.LBB6_358:
	v_cmp_eq_u32_e64 s[4:5], 21, v10
	s_mov_b64 s[18:19], -1
                                        ; implicit-def: $vgpr14
	s_and_saveexec_b64 s[22:23], s[4:5]
	s_cbranch_execz .LBB6_360
; %bb.359:
	global_load_dword v14, v[2:3], off offset:4
	s_xor_b64 s[18:19], exec, -1
	s_waitcnt vmcnt(0)
	v_alignbit_b32 v14, v14, v13, 31
	v_and_b32_e32 v14, 7, v14
.LBB6_360:
	s_or_b64 exec, exec, s[22:23]
	s_and_b64 s[18:19], s[18:19], exec
	s_andn2_saveexec_b64 s[4:5], s[20:21]
	s_cbranch_execz .LBB6_91
.LBB6_361:
	s_andn2_b64 s[18:19], s[18:19], exec
	s_and_b64 s[20:21], s[2:3], exec
	s_mov_b64 s[14:15], exec
	s_or_b64 s[18:19], s[18:19], s[20:21]
                                        ; implicit-def: $vgpr14
	s_or_b64 exec, exec, s[4:5]
	s_and_saveexec_b64 s[4:5], s[18:19]
	s_xor_b64 s[4:5], exec, s[4:5]
	s_cbranch_execz .LBB6_92
.LBB6_362:
                                        ; implicit-def: $vgpr14
	s_and_saveexec_b64 s[18:19], s[0:1]
	s_xor_b64 s[18:19], exec, s[18:19]
	s_cbranch_execz .LBB6_368
; %bb.363:
                                        ; implicit-def: $vgpr14
	s_and_saveexec_b64 s[20:21], vcc
	s_xor_b64 s[20:21], exec, s[20:21]
	s_cbranch_execz .LBB6_365
; %bb.364:
	s_waitcnt vmcnt(0)
	v_bfe_u32 v14, v13, v9, 3
.LBB6_365:
	s_andn2_saveexec_b64 s[20:21], s[20:21]
	s_cbranch_execz .LBB6_367
; %bb.366:
	s_waitcnt vmcnt(0)
	v_bfe_u32 v14, v13, v6, 3
.LBB6_367:
	s_or_b64 exec, exec, s[20:21]
.LBB6_368:
	s_andn2_saveexec_b64 s[18:19], s[18:19]
	s_cbranch_execz .LBB6_370
; %bb.369:
	s_waitcnt vmcnt(0)
	v_bfe_u32 v14, v13, v7, 3
.LBB6_370:
	s_or_b64 exec, exec, s[18:19]
	s_andn2_b64 s[14:15], s[14:15], exec
	s_or_b64 exec, exec, s[4:5]
	s_and_saveexec_b64 s[4:5], s[14:15]
	s_cbranch_execnz .LBB6_93
	s_branch .LBB6_94
.LBB6_371:
	v_cmp_eq_u32_e64 s[4:5], 21, v10
	s_mov_b64 s[18:19], -1
                                        ; implicit-def: $vgpr14
	s_and_saveexec_b64 s[22:23], s[4:5]
	s_cbranch_execz .LBB6_373
; %bb.372:
	global_load_dword v14, v[2:3], off offset:4
	s_xor_b64 s[18:19], exec, -1
	s_waitcnt vmcnt(0)
	v_alignbit_b32 v14, v14, v13, 31
	v_and_b32_e32 v14, 7, v14
.LBB6_373:
	s_or_b64 exec, exec, s[22:23]
	s_and_b64 s[18:19], s[18:19], exec
	s_andn2_saveexec_b64 s[4:5], s[20:21]
	s_cbranch_execz .LBB6_96
.LBB6_374:
	s_andn2_b64 s[18:19], s[18:19], exec
	s_and_b64 s[20:21], s[2:3], exec
	s_mov_b64 s[14:15], exec
	s_or_b64 s[18:19], s[18:19], s[20:21]
                                        ; implicit-def: $vgpr14
	s_or_b64 exec, exec, s[4:5]
	s_and_saveexec_b64 s[4:5], s[18:19]
	s_xor_b64 s[4:5], exec, s[4:5]
	s_cbranch_execz .LBB6_97
.LBB6_375:
                                        ; implicit-def: $vgpr14
	s_and_saveexec_b64 s[18:19], s[0:1]
	s_xor_b64 s[18:19], exec, s[18:19]
	s_cbranch_execz .LBB6_381
; %bb.376:
                                        ; implicit-def: $vgpr14
	s_and_saveexec_b64 s[20:21], vcc
	s_xor_b64 s[20:21], exec, s[20:21]
	s_cbranch_execz .LBB6_378
; %bb.377:
	s_waitcnt vmcnt(0)
	v_bfe_u32 v14, v13, v9, 3
.LBB6_378:
	s_andn2_saveexec_b64 s[20:21], s[20:21]
	s_cbranch_execz .LBB6_380
; %bb.379:
	s_waitcnt vmcnt(0)
	v_bfe_u32 v14, v13, v6, 3
.LBB6_380:
	s_or_b64 exec, exec, s[20:21]
.LBB6_381:
	s_andn2_saveexec_b64 s[18:19], s[18:19]
	s_cbranch_execz .LBB6_383
; %bb.382:
	s_waitcnt vmcnt(0)
	v_bfe_u32 v14, v13, v7, 3
.LBB6_383:
	s_or_b64 exec, exec, s[18:19]
	s_andn2_b64 s[14:15], s[14:15], exec
	s_or_b64 exec, exec, s[4:5]
	s_and_saveexec_b64 s[4:5], s[14:15]
	s_cbranch_execnz .LBB6_98
	s_branch .LBB6_99
.LBB6_384:
	v_cmp_eq_u32_e64 s[4:5], 21, v10
	s_mov_b64 s[18:19], -1
                                        ; implicit-def: $vgpr14
	s_and_saveexec_b64 s[22:23], s[4:5]
	s_cbranch_execz .LBB6_386
; %bb.385:
	global_load_dword v14, v[2:3], off offset:4
	s_xor_b64 s[18:19], exec, -1
	s_waitcnt vmcnt(0)
	v_alignbit_b32 v14, v14, v13, 31
	v_and_b32_e32 v14, 7, v14
.LBB6_386:
	s_or_b64 exec, exec, s[22:23]
	s_and_b64 s[18:19], s[18:19], exec
	s_andn2_saveexec_b64 s[4:5], s[20:21]
	s_cbranch_execz .LBB6_101
.LBB6_387:
	s_andn2_b64 s[18:19], s[18:19], exec
	s_and_b64 s[20:21], s[2:3], exec
	s_mov_b64 s[14:15], exec
	s_or_b64 s[18:19], s[18:19], s[20:21]
                                        ; implicit-def: $vgpr14
	s_or_b64 exec, exec, s[4:5]
	s_and_saveexec_b64 s[4:5], s[18:19]
	s_xor_b64 s[4:5], exec, s[4:5]
	s_cbranch_execz .LBB6_102
.LBB6_388:
                                        ; implicit-def: $vgpr14
	s_and_saveexec_b64 s[18:19], s[0:1]
	s_xor_b64 s[18:19], exec, s[18:19]
	s_cbranch_execz .LBB6_394
; %bb.389:
                                        ; implicit-def: $vgpr14
	s_and_saveexec_b64 s[20:21], vcc
	s_xor_b64 s[20:21], exec, s[20:21]
	s_cbranch_execz .LBB6_391
; %bb.390:
	s_waitcnt vmcnt(0)
	v_bfe_u32 v14, v13, v9, 3
.LBB6_391:
	s_andn2_saveexec_b64 s[20:21], s[20:21]
	s_cbranch_execz .LBB6_393
; %bb.392:
	s_waitcnt vmcnt(0)
	v_bfe_u32 v14, v13, v6, 3
.LBB6_393:
	s_or_b64 exec, exec, s[20:21]
.LBB6_394:
	s_andn2_saveexec_b64 s[18:19], s[18:19]
	s_cbranch_execz .LBB6_396
; %bb.395:
	s_waitcnt vmcnt(0)
	v_bfe_u32 v14, v13, v7, 3
.LBB6_396:
	s_or_b64 exec, exec, s[18:19]
	s_andn2_b64 s[14:15], s[14:15], exec
	s_or_b64 exec, exec, s[4:5]
	s_and_saveexec_b64 s[4:5], s[14:15]
	s_cbranch_execnz .LBB6_103
	s_branch .LBB6_104
.LBB6_397:
	v_cmp_eq_u32_e64 s[4:5], 21, v10
	s_mov_b64 s[18:19], -1
                                        ; implicit-def: $vgpr14
	s_and_saveexec_b64 s[22:23], s[4:5]
	s_cbranch_execz .LBB6_399
; %bb.398:
	global_load_dword v14, v[2:3], off offset:4
	s_xor_b64 s[18:19], exec, -1
	s_waitcnt vmcnt(0)
	v_alignbit_b32 v14, v14, v13, 31
	v_and_b32_e32 v14, 7, v14
.LBB6_399:
	s_or_b64 exec, exec, s[22:23]
	s_and_b64 s[18:19], s[18:19], exec
	s_andn2_saveexec_b64 s[4:5], s[20:21]
	s_cbranch_execz .LBB6_106
.LBB6_400:
	s_andn2_b64 s[18:19], s[18:19], exec
	s_and_b64 s[20:21], s[2:3], exec
	s_mov_b64 s[14:15], exec
	s_or_b64 s[18:19], s[18:19], s[20:21]
                                        ; implicit-def: $vgpr14
	s_or_b64 exec, exec, s[4:5]
	s_and_saveexec_b64 s[4:5], s[18:19]
	s_xor_b64 s[4:5], exec, s[4:5]
	s_cbranch_execz .LBB6_107
.LBB6_401:
                                        ; implicit-def: $vgpr14
	s_and_saveexec_b64 s[18:19], s[0:1]
	s_xor_b64 s[18:19], exec, s[18:19]
	s_cbranch_execz .LBB6_407
; %bb.402:
                                        ; implicit-def: $vgpr14
	s_and_saveexec_b64 s[20:21], vcc
	s_xor_b64 s[20:21], exec, s[20:21]
	s_cbranch_execz .LBB6_404
; %bb.403:
	s_waitcnt vmcnt(0)
	v_bfe_u32 v14, v13, v9, 3
.LBB6_404:
	s_andn2_saveexec_b64 s[20:21], s[20:21]
	s_cbranch_execz .LBB6_406
; %bb.405:
	s_waitcnt vmcnt(0)
	v_bfe_u32 v14, v13, v6, 3
.LBB6_406:
	s_or_b64 exec, exec, s[20:21]
.LBB6_407:
	s_andn2_saveexec_b64 s[18:19], s[18:19]
	s_cbranch_execz .LBB6_409
; %bb.408:
	s_waitcnt vmcnt(0)
	v_bfe_u32 v14, v13, v7, 3
.LBB6_409:
	s_or_b64 exec, exec, s[18:19]
	s_andn2_b64 s[14:15], s[14:15], exec
	s_or_b64 exec, exec, s[4:5]
	s_and_saveexec_b64 s[4:5], s[14:15]
	s_cbranch_execnz .LBB6_108
	s_branch .LBB6_109
.LBB6_410:
	v_cmp_eq_u32_e64 s[4:5], 21, v10
	s_mov_b64 s[18:19], -1
                                        ; implicit-def: $vgpr14
	s_and_saveexec_b64 s[22:23], s[4:5]
	s_cbranch_execz .LBB6_412
; %bb.411:
	global_load_dword v14, v[2:3], off offset:4
	s_xor_b64 s[18:19], exec, -1
	s_waitcnt vmcnt(0)
	v_alignbit_b32 v14, v14, v13, 31
	v_and_b32_e32 v14, 7, v14
.LBB6_412:
	s_or_b64 exec, exec, s[22:23]
	s_and_b64 s[18:19], s[18:19], exec
	s_andn2_saveexec_b64 s[4:5], s[20:21]
	s_cbranch_execz .LBB6_111
.LBB6_413:
	s_andn2_b64 s[18:19], s[18:19], exec
	s_and_b64 s[20:21], s[2:3], exec
	s_mov_b64 s[14:15], exec
	s_or_b64 s[18:19], s[18:19], s[20:21]
                                        ; implicit-def: $vgpr14
	s_or_b64 exec, exec, s[4:5]
	s_and_saveexec_b64 s[4:5], s[18:19]
	s_xor_b64 s[4:5], exec, s[4:5]
	s_cbranch_execz .LBB6_112
.LBB6_414:
                                        ; implicit-def: $vgpr14
	s_and_saveexec_b64 s[18:19], s[0:1]
	s_xor_b64 s[18:19], exec, s[18:19]
	s_cbranch_execz .LBB6_420
; %bb.415:
                                        ; implicit-def: $vgpr14
	s_and_saveexec_b64 s[20:21], vcc
	s_xor_b64 s[20:21], exec, s[20:21]
	s_cbranch_execz .LBB6_417
; %bb.416:
	s_waitcnt vmcnt(0)
	v_bfe_u32 v14, v13, v9, 3
.LBB6_417:
	s_andn2_saveexec_b64 s[20:21], s[20:21]
	s_cbranch_execz .LBB6_419
; %bb.418:
	s_waitcnt vmcnt(0)
	v_bfe_u32 v14, v13, v6, 3
.LBB6_419:
	s_or_b64 exec, exec, s[20:21]
.LBB6_420:
	s_andn2_saveexec_b64 s[18:19], s[18:19]
	s_cbranch_execz .LBB6_422
; %bb.421:
	s_waitcnt vmcnt(0)
	v_bfe_u32 v14, v13, v7, 3
.LBB6_422:
	s_or_b64 exec, exec, s[18:19]
	s_andn2_b64 s[14:15], s[14:15], exec
	s_or_b64 exec, exec, s[4:5]
	s_and_saveexec_b64 s[4:5], s[14:15]
	s_cbranch_execnz .LBB6_113
	s_branch .LBB6_114
.LBB6_423:
	v_cmp_eq_u32_e64 s[4:5], 21, v10
	s_mov_b64 s[18:19], -1
                                        ; implicit-def: $vgpr14
	s_and_saveexec_b64 s[22:23], s[4:5]
	s_cbranch_execz .LBB6_425
; %bb.424:
	global_load_dword v14, v[2:3], off offset:4
	s_xor_b64 s[18:19], exec, -1
	s_waitcnt vmcnt(0)
	v_alignbit_b32 v14, v14, v13, 31
	v_and_b32_e32 v14, 7, v14
.LBB6_425:
	s_or_b64 exec, exec, s[22:23]
	s_and_b64 s[18:19], s[18:19], exec
	s_andn2_saveexec_b64 s[4:5], s[20:21]
	s_cbranch_execz .LBB6_116
.LBB6_426:
	s_andn2_b64 s[18:19], s[18:19], exec
	s_and_b64 s[20:21], s[2:3], exec
	s_mov_b64 s[14:15], exec
	s_or_b64 s[18:19], s[18:19], s[20:21]
                                        ; implicit-def: $vgpr14
	s_or_b64 exec, exec, s[4:5]
	s_and_saveexec_b64 s[4:5], s[18:19]
	s_xor_b64 s[4:5], exec, s[4:5]
	s_cbranch_execz .LBB6_117
.LBB6_427:
                                        ; implicit-def: $vgpr14
	s_and_saveexec_b64 s[18:19], s[0:1]
	s_xor_b64 s[18:19], exec, s[18:19]
	s_cbranch_execz .LBB6_433
; %bb.428:
                                        ; implicit-def: $vgpr14
	s_and_saveexec_b64 s[20:21], vcc
	s_xor_b64 s[20:21], exec, s[20:21]
	s_cbranch_execz .LBB6_430
; %bb.429:
	s_waitcnt vmcnt(0)
	v_bfe_u32 v14, v13, v9, 3
.LBB6_430:
	s_andn2_saveexec_b64 s[20:21], s[20:21]
	s_cbranch_execz .LBB6_432
; %bb.431:
	s_waitcnt vmcnt(0)
	v_bfe_u32 v14, v13, v6, 3
.LBB6_432:
	s_or_b64 exec, exec, s[20:21]
.LBB6_433:
	s_andn2_saveexec_b64 s[18:19], s[18:19]
	s_cbranch_execz .LBB6_435
; %bb.434:
	s_waitcnt vmcnt(0)
	v_bfe_u32 v14, v13, v7, 3
.LBB6_435:
	s_or_b64 exec, exec, s[18:19]
	s_andn2_b64 s[14:15], s[14:15], exec
	s_or_b64 exec, exec, s[4:5]
	s_and_saveexec_b64 s[4:5], s[14:15]
	s_cbranch_execnz .LBB6_118
	s_branch .LBB6_119
.LBB6_436:
	v_cmp_eq_u32_e64 s[4:5], 21, v10
	s_mov_b64 s[18:19], -1
                                        ; implicit-def: $vgpr14
	s_and_saveexec_b64 s[22:23], s[4:5]
	s_cbranch_execz .LBB6_438
; %bb.437:
	global_load_dword v14, v[2:3], off offset:4
	s_xor_b64 s[18:19], exec, -1
	s_waitcnt vmcnt(0)
	v_alignbit_b32 v14, v14, v13, 31
	v_and_b32_e32 v14, 7, v14
.LBB6_438:
	s_or_b64 exec, exec, s[22:23]
	s_and_b64 s[18:19], s[18:19], exec
	s_andn2_saveexec_b64 s[4:5], s[20:21]
	s_cbranch_execz .LBB6_121
.LBB6_439:
	s_andn2_b64 s[18:19], s[18:19], exec
	s_and_b64 s[20:21], s[2:3], exec
	s_mov_b64 s[14:15], exec
	s_or_b64 s[18:19], s[18:19], s[20:21]
                                        ; implicit-def: $vgpr14
	s_or_b64 exec, exec, s[4:5]
	s_and_saveexec_b64 s[4:5], s[18:19]
	s_xor_b64 s[4:5], exec, s[4:5]
	s_cbranch_execz .LBB6_122
.LBB6_440:
                                        ; implicit-def: $vgpr14
	s_and_saveexec_b64 s[18:19], s[0:1]
	s_xor_b64 s[18:19], exec, s[18:19]
	s_cbranch_execz .LBB6_446
; %bb.441:
                                        ; implicit-def: $vgpr14
	s_and_saveexec_b64 s[20:21], vcc
	s_xor_b64 s[20:21], exec, s[20:21]
	s_cbranch_execz .LBB6_443
; %bb.442:
	s_waitcnt vmcnt(0)
	v_bfe_u32 v14, v13, v9, 3
.LBB6_443:
	s_andn2_saveexec_b64 s[20:21], s[20:21]
	s_cbranch_execz .LBB6_445
; %bb.444:
	s_waitcnt vmcnt(0)
	v_bfe_u32 v14, v13, v6, 3
.LBB6_445:
	s_or_b64 exec, exec, s[20:21]
.LBB6_446:
	s_andn2_saveexec_b64 s[18:19], s[18:19]
	s_cbranch_execz .LBB6_448
; %bb.447:
	s_waitcnt vmcnt(0)
	v_bfe_u32 v14, v13, v7, 3
.LBB6_448:
	s_or_b64 exec, exec, s[18:19]
	s_andn2_b64 s[14:15], s[14:15], exec
	s_or_b64 exec, exec, s[4:5]
	s_and_saveexec_b64 s[4:5], s[14:15]
	s_cbranch_execnz .LBB6_123
	s_branch .LBB6_124
.LBB6_449:
	v_cmp_eq_u32_e64 s[4:5], 21, v10
	s_mov_b64 s[18:19], -1
                                        ; implicit-def: $vgpr13
	s_and_saveexec_b64 s[22:23], s[4:5]
	s_cbranch_execz .LBB6_451
; %bb.450:
	global_load_dword v13, v[2:3], off offset:4
	s_xor_b64 s[18:19], exec, -1
	s_waitcnt vmcnt(0)
	v_alignbit_b32 v13, v13, v12, 31
	v_and_b32_e32 v13, 7, v13
.LBB6_451:
	s_or_b64 exec, exec, s[22:23]
	s_and_b64 s[18:19], s[18:19], exec
	s_andn2_saveexec_b64 s[4:5], s[20:21]
	s_cbranch_execz .LBB6_126
.LBB6_452:
	s_andn2_b64 s[18:19], s[18:19], exec
	s_and_b64 s[20:21], s[2:3], exec
	s_mov_b64 s[14:15], exec
	s_or_b64 s[18:19], s[18:19], s[20:21]
                                        ; implicit-def: $vgpr13
	s_or_b64 exec, exec, s[4:5]
	s_and_saveexec_b64 s[4:5], s[18:19]
	s_xor_b64 s[4:5], exec, s[4:5]
	s_cbranch_execz .LBB6_127
.LBB6_453:
                                        ; implicit-def: $vgpr13
	s_and_saveexec_b64 s[18:19], s[0:1]
	s_xor_b64 s[18:19], exec, s[18:19]
	s_cbranch_execz .LBB6_459
; %bb.454:
                                        ; implicit-def: $vgpr13
	s_and_saveexec_b64 s[20:21], vcc
	s_xor_b64 s[20:21], exec, s[20:21]
	s_cbranch_execz .LBB6_456
; %bb.455:
	s_waitcnt vmcnt(0)
	v_bfe_u32 v13, v12, v9, 3
.LBB6_456:
	s_andn2_saveexec_b64 s[20:21], s[20:21]
	s_cbranch_execz .LBB6_458
; %bb.457:
	s_waitcnt vmcnt(0)
	v_bfe_u32 v13, v12, v6, 3
.LBB6_458:
	s_or_b64 exec, exec, s[20:21]
.LBB6_459:
	s_andn2_saveexec_b64 s[18:19], s[18:19]
	s_cbranch_execz .LBB6_461
; %bb.460:
	s_waitcnt vmcnt(0)
	v_bfe_u32 v13, v12, v7, 3
.LBB6_461:
	s_or_b64 exec, exec, s[18:19]
	s_andn2_b64 s[14:15], s[14:15], exec
	s_or_b64 exec, exec, s[4:5]
	s_and_saveexec_b64 s[4:5], s[14:15]
	s_cbranch_execnz .LBB6_128
	s_branch .LBB6_129
.LBB6_462:
	v_cmp_eq_u32_e64 s[4:5], 21, v10
	s_mov_b64 s[18:19], -1
                                        ; implicit-def: $vgpr13
	s_and_saveexec_b64 s[22:23], s[4:5]
	s_cbranch_execz .LBB6_464
; %bb.463:
	global_load_dword v13, v[2:3], off offset:4
	s_xor_b64 s[18:19], exec, -1
	s_waitcnt vmcnt(0)
	v_alignbit_b32 v13, v13, v12, 31
	v_and_b32_e32 v13, 7, v13
.LBB6_464:
	s_or_b64 exec, exec, s[22:23]
	s_and_b64 s[18:19], s[18:19], exec
	s_andn2_saveexec_b64 s[4:5], s[20:21]
	s_cbranch_execz .LBB6_131
.LBB6_465:
	s_andn2_b64 s[18:19], s[18:19], exec
	s_and_b64 s[20:21], s[2:3], exec
	s_mov_b64 s[14:15], exec
	s_or_b64 s[18:19], s[18:19], s[20:21]
                                        ; implicit-def: $vgpr13
	s_or_b64 exec, exec, s[4:5]
	s_and_saveexec_b64 s[4:5], s[18:19]
	s_xor_b64 s[4:5], exec, s[4:5]
	s_cbranch_execz .LBB6_132
.LBB6_466:
                                        ; implicit-def: $vgpr13
	s_and_saveexec_b64 s[18:19], s[0:1]
	s_xor_b64 s[18:19], exec, s[18:19]
	s_cbranch_execz .LBB6_472
; %bb.467:
                                        ; implicit-def: $vgpr13
	s_and_saveexec_b64 s[20:21], vcc
	s_xor_b64 s[20:21], exec, s[20:21]
	s_cbranch_execz .LBB6_469
; %bb.468:
	s_waitcnt vmcnt(0)
	v_bfe_u32 v13, v12, v9, 3
.LBB6_469:
	s_andn2_saveexec_b64 s[20:21], s[20:21]
	s_cbranch_execz .LBB6_471
; %bb.470:
	s_waitcnt vmcnt(0)
	v_bfe_u32 v13, v12, v6, 3
.LBB6_471:
	s_or_b64 exec, exec, s[20:21]
.LBB6_472:
	s_andn2_saveexec_b64 s[18:19], s[18:19]
	s_cbranch_execz .LBB6_474
; %bb.473:
	s_waitcnt vmcnt(0)
	v_bfe_u32 v13, v12, v7, 3
.LBB6_474:
	s_or_b64 exec, exec, s[18:19]
	s_andn2_b64 s[14:15], s[14:15], exec
	s_or_b64 exec, exec, s[4:5]
	s_and_saveexec_b64 s[4:5], s[14:15]
	s_cbranch_execnz .LBB6_133
	s_branch .LBB6_134
.LBB6_475:
	v_cmp_eq_u32_e64 s[4:5], 21, v10
	s_mov_b64 s[18:19], -1
                                        ; implicit-def: $vgpr13
	s_and_saveexec_b64 s[22:23], s[4:5]
	s_cbranch_execz .LBB6_477
; %bb.476:
	global_load_dword v13, v[2:3], off offset:4
	s_xor_b64 s[18:19], exec, -1
	s_waitcnt vmcnt(0)
	v_alignbit_b32 v13, v13, v12, 31
	v_and_b32_e32 v13, 7, v13
.LBB6_477:
	s_or_b64 exec, exec, s[22:23]
	s_and_b64 s[18:19], s[18:19], exec
	s_andn2_saveexec_b64 s[4:5], s[20:21]
	s_cbranch_execz .LBB6_136
.LBB6_478:
	s_andn2_b64 s[18:19], s[18:19], exec
	s_and_b64 s[20:21], s[2:3], exec
	s_mov_b64 s[14:15], exec
	s_or_b64 s[18:19], s[18:19], s[20:21]
                                        ; implicit-def: $vgpr13
	s_or_b64 exec, exec, s[4:5]
	s_and_saveexec_b64 s[4:5], s[18:19]
	s_xor_b64 s[4:5], exec, s[4:5]
	s_cbranch_execz .LBB6_137
.LBB6_479:
                                        ; implicit-def: $vgpr13
	s_and_saveexec_b64 s[18:19], s[0:1]
	s_xor_b64 s[18:19], exec, s[18:19]
	s_cbranch_execz .LBB6_485
; %bb.480:
                                        ; implicit-def: $vgpr13
	s_and_saveexec_b64 s[20:21], vcc
	s_xor_b64 s[20:21], exec, s[20:21]
	s_cbranch_execz .LBB6_482
; %bb.481:
	s_waitcnt vmcnt(0)
	v_bfe_u32 v13, v12, v9, 3
.LBB6_482:
	s_andn2_saveexec_b64 s[20:21], s[20:21]
	s_cbranch_execz .LBB6_484
; %bb.483:
	s_waitcnt vmcnt(0)
	v_bfe_u32 v13, v12, v6, 3
.LBB6_484:
	s_or_b64 exec, exec, s[20:21]
.LBB6_485:
	s_andn2_saveexec_b64 s[18:19], s[18:19]
	s_cbranch_execz .LBB6_487
; %bb.486:
	s_waitcnt vmcnt(0)
	v_bfe_u32 v13, v12, v7, 3
.LBB6_487:
	s_or_b64 exec, exec, s[18:19]
	s_andn2_b64 s[14:15], s[14:15], exec
	s_or_b64 exec, exec, s[4:5]
	s_and_saveexec_b64 s[4:5], s[14:15]
	s_cbranch_execnz .LBB6_138
	s_branch .LBB6_139
.LBB6_488:
	v_cmp_eq_u32_e64 s[4:5], 21, v10
	s_mov_b64 s[18:19], -1
                                        ; implicit-def: $vgpr13
	s_and_saveexec_b64 s[22:23], s[4:5]
	s_cbranch_execz .LBB6_490
; %bb.489:
	global_load_dword v13, v[2:3], off offset:4
	s_xor_b64 s[18:19], exec, -1
	s_waitcnt vmcnt(0)
	v_alignbit_b32 v13, v13, v12, 31
	v_and_b32_e32 v13, 7, v13
.LBB6_490:
	s_or_b64 exec, exec, s[22:23]
	s_and_b64 s[18:19], s[18:19], exec
	s_andn2_saveexec_b64 s[4:5], s[20:21]
	s_cbranch_execz .LBB6_141
.LBB6_491:
	s_andn2_b64 s[18:19], s[18:19], exec
	s_and_b64 s[20:21], s[2:3], exec
	s_mov_b64 s[14:15], exec
	s_or_b64 s[18:19], s[18:19], s[20:21]
                                        ; implicit-def: $vgpr13
	s_or_b64 exec, exec, s[4:5]
	s_and_saveexec_b64 s[4:5], s[18:19]
	s_xor_b64 s[4:5], exec, s[4:5]
	s_cbranch_execz .LBB6_142
.LBB6_492:
                                        ; implicit-def: $vgpr13
	s_and_saveexec_b64 s[18:19], s[0:1]
	s_xor_b64 s[18:19], exec, s[18:19]
	s_cbranch_execz .LBB6_498
; %bb.493:
                                        ; implicit-def: $vgpr13
	s_and_saveexec_b64 s[20:21], vcc
	s_xor_b64 s[20:21], exec, s[20:21]
	s_cbranch_execz .LBB6_495
; %bb.494:
	s_waitcnt vmcnt(0)
	v_bfe_u32 v13, v12, v9, 3
.LBB6_495:
	s_andn2_saveexec_b64 s[20:21], s[20:21]
	s_cbranch_execz .LBB6_497
; %bb.496:
	s_waitcnt vmcnt(0)
	v_bfe_u32 v13, v12, v6, 3
.LBB6_497:
	s_or_b64 exec, exec, s[20:21]
.LBB6_498:
	s_andn2_saveexec_b64 s[18:19], s[18:19]
	s_cbranch_execz .LBB6_500
; %bb.499:
	s_waitcnt vmcnt(0)
	v_bfe_u32 v13, v12, v7, 3
.LBB6_500:
	s_or_b64 exec, exec, s[18:19]
	s_andn2_b64 s[14:15], s[14:15], exec
	s_or_b64 exec, exec, s[4:5]
	s_and_saveexec_b64 s[4:5], s[14:15]
	s_cbranch_execnz .LBB6_143
	s_branch .LBB6_144
.LBB6_501:
	v_cmp_eq_u32_e64 s[4:5], 21, v10
	s_mov_b64 s[18:19], -1
                                        ; implicit-def: $vgpr13
	s_and_saveexec_b64 s[22:23], s[4:5]
	s_cbranch_execz .LBB6_503
; %bb.502:
	global_load_dword v13, v[2:3], off offset:4
	s_xor_b64 s[18:19], exec, -1
	s_waitcnt vmcnt(0)
	v_alignbit_b32 v13, v13, v12, 31
	v_and_b32_e32 v13, 7, v13
.LBB6_503:
	s_or_b64 exec, exec, s[22:23]
	s_and_b64 s[18:19], s[18:19], exec
	s_andn2_saveexec_b64 s[4:5], s[20:21]
	s_cbranch_execz .LBB6_146
.LBB6_504:
	s_andn2_b64 s[18:19], s[18:19], exec
	s_and_b64 s[20:21], s[2:3], exec
	s_mov_b64 s[14:15], exec
	s_or_b64 s[18:19], s[18:19], s[20:21]
                                        ; implicit-def: $vgpr13
	s_or_b64 exec, exec, s[4:5]
	s_and_saveexec_b64 s[4:5], s[18:19]
	s_xor_b64 s[4:5], exec, s[4:5]
	s_cbranch_execz .LBB6_147
.LBB6_505:
                                        ; implicit-def: $vgpr13
	s_and_saveexec_b64 s[18:19], s[0:1]
	s_xor_b64 s[18:19], exec, s[18:19]
	s_cbranch_execz .LBB6_511
; %bb.506:
                                        ; implicit-def: $vgpr13
	s_and_saveexec_b64 s[20:21], vcc
	s_xor_b64 s[20:21], exec, s[20:21]
	s_cbranch_execz .LBB6_508
; %bb.507:
	s_waitcnt vmcnt(0)
	v_bfe_u32 v13, v12, v9, 3
.LBB6_508:
	s_andn2_saveexec_b64 s[20:21], s[20:21]
	s_cbranch_execz .LBB6_510
; %bb.509:
	s_waitcnt vmcnt(0)
	v_bfe_u32 v13, v12, v6, 3
.LBB6_510:
	s_or_b64 exec, exec, s[20:21]
.LBB6_511:
	s_andn2_saveexec_b64 s[18:19], s[18:19]
	s_cbranch_execz .LBB6_513
; %bb.512:
	s_waitcnt vmcnt(0)
	v_bfe_u32 v13, v12, v7, 3
.LBB6_513:
	s_or_b64 exec, exec, s[18:19]
	s_andn2_b64 s[14:15], s[14:15], exec
	s_or_b64 exec, exec, s[4:5]
	s_and_saveexec_b64 s[4:5], s[14:15]
	s_cbranch_execnz .LBB6_148
	s_branch .LBB6_149
.LBB6_514:
	v_cmp_eq_u32_e64 s[4:5], 21, v10
	s_mov_b64 s[18:19], -1
                                        ; implicit-def: $vgpr13
	s_and_saveexec_b64 s[22:23], s[4:5]
	s_cbranch_execz .LBB6_516
; %bb.515:
	global_load_dword v13, v[2:3], off offset:4
	s_xor_b64 s[18:19], exec, -1
	s_waitcnt vmcnt(0)
	v_alignbit_b32 v13, v13, v12, 31
	v_and_b32_e32 v13, 7, v13
.LBB6_516:
	s_or_b64 exec, exec, s[22:23]
	s_and_b64 s[18:19], s[18:19], exec
	s_andn2_saveexec_b64 s[4:5], s[20:21]
	s_cbranch_execz .LBB6_151
.LBB6_517:
	s_andn2_b64 s[18:19], s[18:19], exec
	s_and_b64 s[20:21], s[2:3], exec
	s_mov_b64 s[14:15], exec
	s_or_b64 s[18:19], s[18:19], s[20:21]
                                        ; implicit-def: $vgpr13
	s_or_b64 exec, exec, s[4:5]
	s_and_saveexec_b64 s[4:5], s[18:19]
	s_xor_b64 s[4:5], exec, s[4:5]
	s_cbranch_execz .LBB6_152
.LBB6_518:
                                        ; implicit-def: $vgpr13
	s_and_saveexec_b64 s[18:19], s[0:1]
	s_xor_b64 s[18:19], exec, s[18:19]
	s_cbranch_execz .LBB6_524
; %bb.519:
                                        ; implicit-def: $vgpr13
	s_and_saveexec_b64 s[20:21], vcc
	s_xor_b64 s[20:21], exec, s[20:21]
	s_cbranch_execz .LBB6_521
; %bb.520:
	s_waitcnt vmcnt(0)
	v_bfe_u32 v13, v12, v9, 3
.LBB6_521:
	s_andn2_saveexec_b64 s[20:21], s[20:21]
	s_cbranch_execz .LBB6_523
; %bb.522:
	s_waitcnt vmcnt(0)
	v_bfe_u32 v13, v12, v6, 3
.LBB6_523:
	s_or_b64 exec, exec, s[20:21]
.LBB6_524:
	s_andn2_saveexec_b64 s[18:19], s[18:19]
	s_cbranch_execz .LBB6_526
; %bb.525:
	s_waitcnt vmcnt(0)
	v_bfe_u32 v13, v12, v7, 3
.LBB6_526:
	s_or_b64 exec, exec, s[18:19]
	s_andn2_b64 s[14:15], s[14:15], exec
	s_or_b64 exec, exec, s[4:5]
	s_and_saveexec_b64 s[4:5], s[14:15]
	s_cbranch_execnz .LBB6_153
	s_branch .LBB6_154
.LBB6_527:
	v_cmp_eq_u32_e64 s[4:5], 21, v10
	s_mov_b64 s[18:19], -1
                                        ; implicit-def: $vgpr13
	s_and_saveexec_b64 s[22:23], s[4:5]
	s_cbranch_execz .LBB6_529
; %bb.528:
	global_load_dword v13, v[2:3], off offset:4
	s_xor_b64 s[18:19], exec, -1
	s_waitcnt vmcnt(0)
	v_alignbit_b32 v13, v13, v12, 31
	v_and_b32_e32 v13, 7, v13
.LBB6_529:
	s_or_b64 exec, exec, s[22:23]
	s_and_b64 s[18:19], s[18:19], exec
	s_andn2_saveexec_b64 s[4:5], s[20:21]
	s_cbranch_execz .LBB6_156
.LBB6_530:
	s_andn2_b64 s[18:19], s[18:19], exec
	s_and_b64 s[20:21], s[2:3], exec
	s_mov_b64 s[14:15], exec
	s_or_b64 s[18:19], s[18:19], s[20:21]
                                        ; implicit-def: $vgpr13
	s_or_b64 exec, exec, s[4:5]
	s_and_saveexec_b64 s[4:5], s[18:19]
	s_xor_b64 s[4:5], exec, s[4:5]
	s_cbranch_execz .LBB6_157
.LBB6_531:
                                        ; implicit-def: $vgpr13
	s_and_saveexec_b64 s[18:19], s[0:1]
	s_xor_b64 s[18:19], exec, s[18:19]
	s_cbranch_execz .LBB6_537
; %bb.532:
                                        ; implicit-def: $vgpr13
	s_and_saveexec_b64 s[20:21], vcc
	s_xor_b64 s[20:21], exec, s[20:21]
	s_cbranch_execz .LBB6_534
; %bb.533:
	s_waitcnt vmcnt(0)
	v_bfe_u32 v13, v12, v9, 3
.LBB6_534:
	s_andn2_saveexec_b64 s[20:21], s[20:21]
	s_cbranch_execz .LBB6_536
; %bb.535:
	s_waitcnt vmcnt(0)
	v_bfe_u32 v13, v12, v6, 3
.LBB6_536:
	s_or_b64 exec, exec, s[20:21]
.LBB6_537:
	s_andn2_saveexec_b64 s[18:19], s[18:19]
	s_cbranch_execz .LBB6_539
; %bb.538:
	s_waitcnt vmcnt(0)
	v_bfe_u32 v13, v12, v7, 3
.LBB6_539:
	s_or_b64 exec, exec, s[18:19]
	s_andn2_b64 s[14:15], s[14:15], exec
	s_or_b64 exec, exec, s[4:5]
	s_and_saveexec_b64 s[4:5], s[14:15]
	s_cbranch_execnz .LBB6_158
	s_branch .LBB6_159
.LBB6_540:
	v_cmp_eq_u32_e64 s[4:5], 21, v10
	s_mov_b64 s[18:19], -1
                                        ; implicit-def: $vgpr13
	s_and_saveexec_b64 s[22:23], s[4:5]
	s_cbranch_execz .LBB6_542
; %bb.541:
	global_load_dword v13, v[2:3], off offset:4
	s_xor_b64 s[18:19], exec, -1
	s_waitcnt vmcnt(0)
	v_alignbit_b32 v13, v13, v12, 31
	v_and_b32_e32 v13, 7, v13
.LBB6_542:
	s_or_b64 exec, exec, s[22:23]
	s_and_b64 s[18:19], s[18:19], exec
	s_andn2_saveexec_b64 s[4:5], s[20:21]
	s_cbranch_execz .LBB6_161
.LBB6_543:
	s_andn2_b64 s[18:19], s[18:19], exec
	s_and_b64 s[20:21], s[2:3], exec
	s_mov_b64 s[14:15], exec
	s_or_b64 s[18:19], s[18:19], s[20:21]
                                        ; implicit-def: $vgpr13
	s_or_b64 exec, exec, s[4:5]
	s_and_saveexec_b64 s[4:5], s[18:19]
	s_xor_b64 s[4:5], exec, s[4:5]
	s_cbranch_execz .LBB6_162
.LBB6_544:
                                        ; implicit-def: $vgpr13
	s_and_saveexec_b64 s[18:19], s[0:1]
	s_xor_b64 s[18:19], exec, s[18:19]
	s_cbranch_execz .LBB6_550
; %bb.545:
                                        ; implicit-def: $vgpr13
	s_and_saveexec_b64 s[20:21], vcc
	s_xor_b64 s[20:21], exec, s[20:21]
	s_cbranch_execz .LBB6_547
; %bb.546:
	s_waitcnt vmcnt(0)
	v_bfe_u32 v13, v12, v9, 3
.LBB6_547:
	s_andn2_saveexec_b64 s[20:21], s[20:21]
	s_cbranch_execz .LBB6_549
; %bb.548:
	s_waitcnt vmcnt(0)
	v_bfe_u32 v13, v12, v6, 3
.LBB6_549:
	s_or_b64 exec, exec, s[20:21]
.LBB6_550:
	s_andn2_saveexec_b64 s[18:19], s[18:19]
	s_cbranch_execz .LBB6_552
; %bb.551:
	s_waitcnt vmcnt(0)
	v_bfe_u32 v13, v12, v7, 3
.LBB6_552:
	s_or_b64 exec, exec, s[18:19]
	s_andn2_b64 s[14:15], s[14:15], exec
	s_or_b64 exec, exec, s[4:5]
	s_and_saveexec_b64 s[4:5], s[14:15]
	s_cbranch_execnz .LBB6_163
	s_branch .LBB6_164
.LBB6_553:
	v_cmp_eq_u32_e64 s[4:5], 21, v10
	s_mov_b64 s[18:19], -1
                                        ; implicit-def: $vgpr13
	s_and_saveexec_b64 s[22:23], s[4:5]
	s_cbranch_execz .LBB6_555
; %bb.554:
	global_load_dword v13, v[2:3], off offset:4
	s_xor_b64 s[18:19], exec, -1
	s_waitcnt vmcnt(0)
	v_alignbit_b32 v13, v13, v12, 31
	v_and_b32_e32 v13, 7, v13
.LBB6_555:
	s_or_b64 exec, exec, s[22:23]
	s_and_b64 s[18:19], s[18:19], exec
	s_andn2_saveexec_b64 s[4:5], s[20:21]
	s_cbranch_execz .LBB6_166
.LBB6_556:
	s_andn2_b64 s[18:19], s[18:19], exec
	s_and_b64 s[20:21], s[2:3], exec
	s_mov_b64 s[14:15], exec
	s_or_b64 s[18:19], s[18:19], s[20:21]
                                        ; implicit-def: $vgpr13
	s_or_b64 exec, exec, s[4:5]
	s_and_saveexec_b64 s[4:5], s[18:19]
	s_xor_b64 s[4:5], exec, s[4:5]
	s_cbranch_execz .LBB6_167
.LBB6_557:
                                        ; implicit-def: $vgpr13
	s_and_saveexec_b64 s[18:19], s[0:1]
	s_xor_b64 s[18:19], exec, s[18:19]
	s_cbranch_execz .LBB6_563
; %bb.558:
                                        ; implicit-def: $vgpr13
	s_and_saveexec_b64 s[20:21], vcc
	s_xor_b64 s[20:21], exec, s[20:21]
	s_cbranch_execz .LBB6_560
; %bb.559:
	s_waitcnt vmcnt(0)
	v_bfe_u32 v13, v12, v9, 3
.LBB6_560:
	s_andn2_saveexec_b64 s[20:21], s[20:21]
	s_cbranch_execz .LBB6_562
; %bb.561:
	s_waitcnt vmcnt(0)
	v_bfe_u32 v13, v12, v6, 3
.LBB6_562:
	s_or_b64 exec, exec, s[20:21]
.LBB6_563:
	s_andn2_saveexec_b64 s[18:19], s[18:19]
	s_cbranch_execz .LBB6_565
; %bb.564:
	s_waitcnt vmcnt(0)
	v_bfe_u32 v13, v12, v7, 3
.LBB6_565:
	s_or_b64 exec, exec, s[18:19]
	s_andn2_b64 s[14:15], s[14:15], exec
	s_or_b64 exec, exec, s[4:5]
	s_and_saveexec_b64 s[4:5], s[14:15]
	s_cbranch_execnz .LBB6_168
	s_branch .LBB6_169
.LBB6_566:
	v_cmp_eq_u32_e64 s[4:5], 21, v10
	s_mov_b64 s[10:11], -1
                                        ; implicit-def: $vgpr11
	s_and_saveexec_b64 s[14:15], s[4:5]
	s_cbranch_execz .LBB6_568
; %bb.567:
	global_load_dword v10, v[2:3], off offset:4
	s_xor_b64 s[10:11], exec, -1
	s_waitcnt vmcnt(0)
	v_alignbit_b32 v10, v10, v8, 31
	v_and_b32_e32 v11, 7, v10
.LBB6_568:
	s_or_b64 exec, exec, s[14:15]
	s_and_b64 s[10:11], s[10:11], exec
	s_andn2_saveexec_b64 s[4:5], s[12:13]
	s_cbranch_execz .LBB6_171
.LBB6_569:
	s_andn2_b64 s[10:11], s[10:11], exec
	s_and_b64 s[2:3], s[2:3], exec
	s_mov_b64 s[6:7], exec
	s_or_b64 s[10:11], s[10:11], s[2:3]
                                        ; implicit-def: $vgpr11
	s_or_b64 exec, exec, s[4:5]
	s_and_saveexec_b64 s[2:3], s[10:11]
	s_xor_b64 s[2:3], exec, s[2:3]
	s_cbranch_execz .LBB6_172
.LBB6_570:
                                        ; implicit-def: $vgpr11
	s_and_saveexec_b64 s[4:5], s[0:1]
	s_xor_b64 s[0:1], exec, s[4:5]
	s_cbranch_execz .LBB6_576
; %bb.571:
                                        ; implicit-def: $vgpr11
	s_and_saveexec_b64 s[4:5], vcc
	s_xor_b64 s[4:5], exec, s[4:5]
	s_cbranch_execz .LBB6_573
; %bb.572:
	s_waitcnt vmcnt(0)
	v_bfe_u32 v11, v8, v9, 3
                                        ; implicit-def: $vgpr6
.LBB6_573:
	s_andn2_saveexec_b64 s[4:5], s[4:5]
	s_cbranch_execz .LBB6_575
; %bb.574:
	s_waitcnt vmcnt(0)
	v_bfe_u32 v11, v8, v6, 3
.LBB6_575:
	s_or_b64 exec, exec, s[4:5]
                                        ; implicit-def: $vgpr7
.LBB6_576:
	s_andn2_saveexec_b64 s[0:1], s[0:1]
	s_cbranch_execz .LBB6_578
; %bb.577:
	s_waitcnt vmcnt(0)
	v_bfe_u32 v11, v8, v7, 3
.LBB6_578:
	s_or_b64 exec, exec, s[0:1]
	s_andn2_b64 s[6:7], s[6:7], exec
	s_or_b64 exec, exec, s[2:3]
	s_and_saveexec_b64 s[0:1], s[6:7]
	s_cbranch_execnz .LBB6_173
	s_branch .LBB6_174
	.section	.rodata,"a",@progbits
	.p2align	6, 0x0
	.amdhsa_kernel _ZN4vllm4gptq28reconstruct_gptq_3bit_kernelEPKjPK6__halfS2_PKiiiibPS3_
		.amdhsa_group_segment_fixed_size 0
		.amdhsa_private_segment_fixed_size 0
		.amdhsa_kernarg_size 56
		.amdhsa_user_sgpr_count 6
		.amdhsa_user_sgpr_private_segment_buffer 1
		.amdhsa_user_sgpr_dispatch_ptr 0
		.amdhsa_user_sgpr_queue_ptr 0
		.amdhsa_user_sgpr_kernarg_segment_ptr 1
		.amdhsa_user_sgpr_dispatch_id 0
		.amdhsa_user_sgpr_flat_scratch_init 0
		.amdhsa_user_sgpr_kernarg_preload_length 0
		.amdhsa_user_sgpr_kernarg_preload_offset 0
		.amdhsa_user_sgpr_private_segment_size 0
		.amdhsa_uses_dynamic_stack 0
		.amdhsa_system_sgpr_private_segment_wavefront_offset 0
		.amdhsa_system_sgpr_workgroup_id_x 1
		.amdhsa_system_sgpr_workgroup_id_y 1
		.amdhsa_system_sgpr_workgroup_id_z 0
		.amdhsa_system_sgpr_workgroup_info 0
		.amdhsa_system_vgpr_workitem_id 0
		.amdhsa_next_free_vgpr 16
		.amdhsa_next_free_sgpr 27
		.amdhsa_accum_offset 16
		.amdhsa_reserve_vcc 1
		.amdhsa_reserve_flat_scratch 0
		.amdhsa_float_round_mode_32 0
		.amdhsa_float_round_mode_16_64 0
		.amdhsa_float_denorm_mode_32 3
		.amdhsa_float_denorm_mode_16_64 3
		.amdhsa_dx10_clamp 1
		.amdhsa_ieee_mode 1
		.amdhsa_fp16_overflow 0
		.amdhsa_tg_split 0
		.amdhsa_exception_fp_ieee_invalid_op 0
		.amdhsa_exception_fp_denorm_src 0
		.amdhsa_exception_fp_ieee_div_zero 0
		.amdhsa_exception_fp_ieee_overflow 0
		.amdhsa_exception_fp_ieee_underflow 0
		.amdhsa_exception_fp_ieee_inexact 0
		.amdhsa_exception_int_div_zero 0
	.end_amdhsa_kernel
	.text
.Lfunc_end6:
	.size	_ZN4vllm4gptq28reconstruct_gptq_3bit_kernelEPKjPK6__halfS2_PKiiiibPS3_, .Lfunc_end6-_ZN4vllm4gptq28reconstruct_gptq_3bit_kernelEPKjPK6__halfS2_PKiiiibPS3_
                                        ; -- End function
	.section	.AMDGPU.csdata,"",@progbits
; Kernel info:
; codeLenInByte = 15512
; NumSgprs: 31
; NumVgprs: 16
; NumAgprs: 0
; TotalNumVgprs: 16
; ScratchSize: 0
; MemoryBound: 0
; FloatMode: 240
; IeeeMode: 1
; LDSByteSize: 0 bytes/workgroup (compile time only)
; SGPRBlocks: 3
; VGPRBlocks: 1
; NumSGPRsForWavesPerEU: 31
; NumVGPRsForWavesPerEU: 16
; AccumOffset: 16
; Occupancy: 8
; WaveLimiterHint : 1
; COMPUTE_PGM_RSRC2:SCRATCH_EN: 0
; COMPUTE_PGM_RSRC2:USER_SGPR: 6
; COMPUTE_PGM_RSRC2:TRAP_HANDLER: 0
; COMPUTE_PGM_RSRC2:TGID_X_EN: 1
; COMPUTE_PGM_RSRC2:TGID_Y_EN: 1
; COMPUTE_PGM_RSRC2:TGID_Z_EN: 0
; COMPUTE_PGM_RSRC2:TIDIG_COMP_CNT: 0
; COMPUTE_PGM_RSRC3_GFX90A:ACCUM_OFFSET: 3
; COMPUTE_PGM_RSRC3_GFX90A:TG_SPLIT: 0
	.text
	.protected	_ZN4vllm4gptq19shuffle_4bit_kernelEPjii ; -- Begin function _ZN4vllm4gptq19shuffle_4bit_kernelEPjii
	.globl	_ZN4vllm4gptq19shuffle_4bit_kernelEPjii
	.p2align	8
	.type	_ZN4vllm4gptq19shuffle_4bit_kernelEPjii,@function
_ZN4vllm4gptq19shuffle_4bit_kernelEPjii: ; @_ZN4vllm4gptq19shuffle_4bit_kernelEPjii
; %bb.0:
	s_load_dwordx2 s[0:1], s[4:5], 0x8
	v_lshl_add_u32 v0, s6, 5, v0
	s_mov_b32 s7, 0
	s_waitcnt lgkmcnt(0)
	s_cmp_gt_i32 s0, 0
	v_cmp_gt_u32_e32 vcc, s1, v0
	s_cselect_b64 s[2:3], -1, 0
	s_and_b64 s[2:3], vcc, s[2:3]
	s_and_saveexec_b64 s[8:9], s[2:3]
	s_cbranch_execz .LBB7_3
; %bb.1:
	s_load_dwordx2 s[2:3], s[4:5], 0x0
	v_mov_b32_e32 v1, 0
	v_lshlrev_b64 v[0:1], 2, v[0:1]
	s_waitcnt lgkmcnt(0)
	v_mov_b32_e32 v2, s3
	v_add_co_u32_e32 v0, vcc, s2, v0
	s_ashr_i32 s3, s1, 31
	s_mov_b32 s2, s1
	s_lshl_b64 s[2:3], s[2:3], 2
	v_addc_co_u32_e32 v1, vcc, v2, v1, vcc
	v_mov_b32_e32 v2, s3
.LBB7_2:                                ; =>This Inner Loop Header: Depth=1
	global_load_dword v3, v[0:1], off
	s_add_i32 s7, s7, 8
	s_cmp_lt_i32 s7, s0
	s_waitcnt vmcnt(0)
	v_lshrrev_b32_e32 v8, 8, v3
	v_lshrrev_b32_e32 v9, 12, v3
	v_lshlrev_b32_e32 v4, 12, v3
	v_lshlrev_b32_e32 v5, 8, v3
	v_lshrrev_b32_e32 v6, 4, v3
	v_lshlrev_b32_e32 v7, 4, v3
	v_and_b32_e32 v3, 0xf000000f, v3
	v_and_b32_e32 v8, 0xf00, v8
	;; [unrolled: 1-line block ×5, first 2 shown]
	v_or3_b32 v3, v3, v9, v8
	v_and_b32_e32 v4, 0xf0000, v4
	v_and_b32_e32 v5, 0xf00000, v5
	v_or3_b32 v3, v3, v7, v6
	v_or3_b32 v3, v3, v5, v4
	global_store_dword v[0:1], v3, off
	v_add_co_u32_e32 v0, vcc, s2, v0
	v_addc_co_u32_e32 v1, vcc, v1, v2, vcc
	s_cbranch_scc1 .LBB7_2
.LBB7_3:
	s_endpgm
	.section	.rodata,"a",@progbits
	.p2align	6, 0x0
	.amdhsa_kernel _ZN4vllm4gptq19shuffle_4bit_kernelEPjii
		.amdhsa_group_segment_fixed_size 0
		.amdhsa_private_segment_fixed_size 0
		.amdhsa_kernarg_size 16
		.amdhsa_user_sgpr_count 6
		.amdhsa_user_sgpr_private_segment_buffer 1
		.amdhsa_user_sgpr_dispatch_ptr 0
		.amdhsa_user_sgpr_queue_ptr 0
		.amdhsa_user_sgpr_kernarg_segment_ptr 1
		.amdhsa_user_sgpr_dispatch_id 0
		.amdhsa_user_sgpr_flat_scratch_init 0
		.amdhsa_user_sgpr_kernarg_preload_length 0
		.amdhsa_user_sgpr_kernarg_preload_offset 0
		.amdhsa_user_sgpr_private_segment_size 0
		.amdhsa_uses_dynamic_stack 0
		.amdhsa_system_sgpr_private_segment_wavefront_offset 0
		.amdhsa_system_sgpr_workgroup_id_x 1
		.amdhsa_system_sgpr_workgroup_id_y 0
		.amdhsa_system_sgpr_workgroup_id_z 0
		.amdhsa_system_sgpr_workgroup_info 0
		.amdhsa_system_vgpr_workitem_id 0
		.amdhsa_next_free_vgpr 10
		.amdhsa_next_free_sgpr 10
		.amdhsa_accum_offset 12
		.amdhsa_reserve_vcc 1
		.amdhsa_reserve_flat_scratch 0
		.amdhsa_float_round_mode_32 0
		.amdhsa_float_round_mode_16_64 0
		.amdhsa_float_denorm_mode_32 3
		.amdhsa_float_denorm_mode_16_64 3
		.amdhsa_dx10_clamp 1
		.amdhsa_ieee_mode 1
		.amdhsa_fp16_overflow 0
		.amdhsa_tg_split 0
		.amdhsa_exception_fp_ieee_invalid_op 0
		.amdhsa_exception_fp_denorm_src 0
		.amdhsa_exception_fp_ieee_div_zero 0
		.amdhsa_exception_fp_ieee_overflow 0
		.amdhsa_exception_fp_ieee_underflow 0
		.amdhsa_exception_fp_ieee_inexact 0
		.amdhsa_exception_int_div_zero 0
	.end_amdhsa_kernel
	.text
.Lfunc_end7:
	.size	_ZN4vllm4gptq19shuffle_4bit_kernelEPjii, .Lfunc_end7-_ZN4vllm4gptq19shuffle_4bit_kernelEPjii
                                        ; -- End function
	.section	.AMDGPU.csdata,"",@progbits
; Kernel info:
; codeLenInByte = 248
; NumSgprs: 14
; NumVgprs: 10
; NumAgprs: 0
; TotalNumVgprs: 10
; ScratchSize: 0
; MemoryBound: 0
; FloatMode: 240
; IeeeMode: 1
; LDSByteSize: 0 bytes/workgroup (compile time only)
; SGPRBlocks: 1
; VGPRBlocks: 1
; NumSGPRsForWavesPerEU: 14
; NumVGPRsForWavesPerEU: 10
; AccumOffset: 12
; Occupancy: 8
; WaveLimiterHint : 0
; COMPUTE_PGM_RSRC2:SCRATCH_EN: 0
; COMPUTE_PGM_RSRC2:USER_SGPR: 6
; COMPUTE_PGM_RSRC2:TRAP_HANDLER: 0
; COMPUTE_PGM_RSRC2:TGID_X_EN: 1
; COMPUTE_PGM_RSRC2:TGID_Y_EN: 0
; COMPUTE_PGM_RSRC2:TGID_Z_EN: 0
; COMPUTE_PGM_RSRC2:TIDIG_COMP_CNT: 0
; COMPUTE_PGM_RSRC3_GFX90A:ACCUM_OFFSET: 2
; COMPUTE_PGM_RSRC3_GFX90A:TG_SPLIT: 0
	.text
	.protected	_ZN4vllm4gptq19shuffle_8bit_kernelEPjii ; -- Begin function _ZN4vllm4gptq19shuffle_8bit_kernelEPjii
	.globl	_ZN4vllm4gptq19shuffle_8bit_kernelEPjii
	.p2align	8
	.type	_ZN4vllm4gptq19shuffle_8bit_kernelEPjii,@function
_ZN4vllm4gptq19shuffle_8bit_kernelEPjii: ; @_ZN4vllm4gptq19shuffle_8bit_kernelEPjii
; %bb.0:
	s_endpgm
	.section	.rodata,"a",@progbits
	.p2align	6, 0x0
	.amdhsa_kernel _ZN4vllm4gptq19shuffle_8bit_kernelEPjii
		.amdhsa_group_segment_fixed_size 0
		.amdhsa_private_segment_fixed_size 0
		.amdhsa_kernarg_size 16
		.amdhsa_user_sgpr_count 6
		.amdhsa_user_sgpr_private_segment_buffer 1
		.amdhsa_user_sgpr_dispatch_ptr 0
		.amdhsa_user_sgpr_queue_ptr 0
		.amdhsa_user_sgpr_kernarg_segment_ptr 1
		.amdhsa_user_sgpr_dispatch_id 0
		.amdhsa_user_sgpr_flat_scratch_init 0
		.amdhsa_user_sgpr_kernarg_preload_length 0
		.amdhsa_user_sgpr_kernarg_preload_offset 0
		.amdhsa_user_sgpr_private_segment_size 0
		.amdhsa_uses_dynamic_stack 0
		.amdhsa_system_sgpr_private_segment_wavefront_offset 0
		.amdhsa_system_sgpr_workgroup_id_x 1
		.amdhsa_system_sgpr_workgroup_id_y 0
		.amdhsa_system_sgpr_workgroup_id_z 0
		.amdhsa_system_sgpr_workgroup_info 0
		.amdhsa_system_vgpr_workitem_id 0
		.amdhsa_next_free_vgpr 1
		.amdhsa_next_free_sgpr 0
		.amdhsa_accum_offset 4
		.amdhsa_reserve_vcc 0
		.amdhsa_reserve_flat_scratch 0
		.amdhsa_float_round_mode_32 0
		.amdhsa_float_round_mode_16_64 0
		.amdhsa_float_denorm_mode_32 3
		.amdhsa_float_denorm_mode_16_64 3
		.amdhsa_dx10_clamp 1
		.amdhsa_ieee_mode 1
		.amdhsa_fp16_overflow 0
		.amdhsa_tg_split 0
		.amdhsa_exception_fp_ieee_invalid_op 0
		.amdhsa_exception_fp_denorm_src 0
		.amdhsa_exception_fp_ieee_div_zero 0
		.amdhsa_exception_fp_ieee_overflow 0
		.amdhsa_exception_fp_ieee_underflow 0
		.amdhsa_exception_fp_ieee_inexact 0
		.amdhsa_exception_int_div_zero 0
	.end_amdhsa_kernel
	.text
.Lfunc_end8:
	.size	_ZN4vllm4gptq19shuffle_8bit_kernelEPjii, .Lfunc_end8-_ZN4vllm4gptq19shuffle_8bit_kernelEPjii
                                        ; -- End function
	.section	.AMDGPU.csdata,"",@progbits
; Kernel info:
; codeLenInByte = 4
; NumSgprs: 4
; NumVgprs: 0
; NumAgprs: 0
; TotalNumVgprs: 0
; ScratchSize: 0
; MemoryBound: 0
; FloatMode: 240
; IeeeMode: 1
; LDSByteSize: 0 bytes/workgroup (compile time only)
; SGPRBlocks: 0
; VGPRBlocks: 0
; NumSGPRsForWavesPerEU: 4
; NumVGPRsForWavesPerEU: 1
; AccumOffset: 4
; Occupancy: 8
; WaveLimiterHint : 0
; COMPUTE_PGM_RSRC2:SCRATCH_EN: 0
; COMPUTE_PGM_RSRC2:USER_SGPR: 6
; COMPUTE_PGM_RSRC2:TRAP_HANDLER: 0
; COMPUTE_PGM_RSRC2:TGID_X_EN: 1
; COMPUTE_PGM_RSRC2:TGID_Y_EN: 0
; COMPUTE_PGM_RSRC2:TGID_Z_EN: 0
; COMPUTE_PGM_RSRC2:TIDIG_COMP_CNT: 0
; COMPUTE_PGM_RSRC3_GFX90A:ACCUM_OFFSET: 0
; COMPUTE_PGM_RSRC3_GFX90A:TG_SPLIT: 0
	.text
	.protected	_ZN4vllm4gptq19shuffle_2bit_kernelEPjii ; -- Begin function _ZN4vllm4gptq19shuffle_2bit_kernelEPjii
	.globl	_ZN4vllm4gptq19shuffle_2bit_kernelEPjii
	.p2align	8
	.type	_ZN4vllm4gptq19shuffle_2bit_kernelEPjii,@function
_ZN4vllm4gptq19shuffle_2bit_kernelEPjii: ; @_ZN4vllm4gptq19shuffle_2bit_kernelEPjii
; %bb.0:
	s_load_dwordx2 s[0:1], s[4:5], 0x8
	v_lshl_add_u32 v0, s6, 5, v0
	s_mov_b32 s7, 0
	s_waitcnt lgkmcnt(0)
	s_cmp_gt_i32 s0, 0
	v_cmp_gt_u32_e32 vcc, s1, v0
	s_cselect_b64 s[2:3], -1, 0
	s_and_b64 s[2:3], vcc, s[2:3]
	s_and_saveexec_b64 s[8:9], s[2:3]
	s_cbranch_execz .LBB9_3
; %bb.1:
	s_load_dwordx2 s[2:3], s[4:5], 0x0
	v_mov_b32_e32 v1, 0
	v_lshlrev_b64 v[0:1], 2, v[0:1]
	s_waitcnt lgkmcnt(0)
	v_mov_b32_e32 v2, s3
	v_add_co_u32_e32 v0, vcc, s2, v0
	s_ashr_i32 s3, s1, 31
	s_mov_b32 s2, s1
	s_lshl_b64 s[2:3], s[2:3], 2
	v_addc_co_u32_e32 v1, vcc, v2, v1, vcc
	v_mov_b32_e32 v2, s3
.LBB9_2:                                ; =>This Inner Loop Header: Depth=1
	global_load_dword v3, v[0:1], off
	s_add_i32 s7, s7, 16
	s_cmp_lt_i32 s7, s0
	s_waitcnt vmcnt(0)
	v_lshrrev_b32_e32 v16, 12, v3
	v_lshrrev_b32_e32 v17, 14, v3
	v_lshlrev_b32_e32 v4, 14, v3
	v_lshlrev_b32_e32 v5, 12, v3
	v_lshrrev_b32_e32 v6, 2, v3
	v_lshlrev_b32_e32 v7, 10, v3
	v_lshrrev_b32_e32 v8, 4, v3
	;; [unrolled: 2-line block ×5, first 2 shown]
	v_lshlrev_b32_e32 v15, 2, v3
	v_and_b32_e32 v3, 0xc0000003, v3
	v_and_b32_e32 v16, 0x3000, v16
	;; [unrolled: 1-line block ×5, first 2 shown]
	v_or3_b32 v3, v3, v17, v16
	v_and_b32_e32 v12, 0x300, v12
	v_and_b32_e32 v13, 0xc000000, v13
	v_or3_b32 v3, v3, v15, v14
	v_and_b32_e32 v10, 0xc0, v10
	v_and_b32_e32 v11, 0x3000000, v11
	;; [unrolled: 3-line block ×5, first 2 shown]
	v_or3_b32 v3, v3, v7, v6
	v_or3_b32 v3, v3, v5, v4
	global_store_dword v[0:1], v3, off
	v_add_co_u32_e32 v0, vcc, s2, v0
	v_addc_co_u32_e32 v1, vcc, v1, v2, vcc
	s_cbranch_scc1 .LBB9_2
.LBB9_3:
	s_endpgm
	.section	.rodata,"a",@progbits
	.p2align	6, 0x0
	.amdhsa_kernel _ZN4vllm4gptq19shuffle_2bit_kernelEPjii
		.amdhsa_group_segment_fixed_size 0
		.amdhsa_private_segment_fixed_size 0
		.amdhsa_kernarg_size 16
		.amdhsa_user_sgpr_count 6
		.amdhsa_user_sgpr_private_segment_buffer 1
		.amdhsa_user_sgpr_dispatch_ptr 0
		.amdhsa_user_sgpr_queue_ptr 0
		.amdhsa_user_sgpr_kernarg_segment_ptr 1
		.amdhsa_user_sgpr_dispatch_id 0
		.amdhsa_user_sgpr_flat_scratch_init 0
		.amdhsa_user_sgpr_kernarg_preload_length 0
		.amdhsa_user_sgpr_kernarg_preload_offset 0
		.amdhsa_user_sgpr_private_segment_size 0
		.amdhsa_uses_dynamic_stack 0
		.amdhsa_system_sgpr_private_segment_wavefront_offset 0
		.amdhsa_system_sgpr_workgroup_id_x 1
		.amdhsa_system_sgpr_workgroup_id_y 0
		.amdhsa_system_sgpr_workgroup_id_z 0
		.amdhsa_system_sgpr_workgroup_info 0
		.amdhsa_system_vgpr_workitem_id 0
		.amdhsa_next_free_vgpr 18
		.amdhsa_next_free_sgpr 10
		.amdhsa_accum_offset 20
		.amdhsa_reserve_vcc 1
		.amdhsa_reserve_flat_scratch 0
		.amdhsa_float_round_mode_32 0
		.amdhsa_float_round_mode_16_64 0
		.amdhsa_float_denorm_mode_32 3
		.amdhsa_float_denorm_mode_16_64 3
		.amdhsa_dx10_clamp 1
		.amdhsa_ieee_mode 1
		.amdhsa_fp16_overflow 0
		.amdhsa_tg_split 0
		.amdhsa_exception_fp_ieee_invalid_op 0
		.amdhsa_exception_fp_denorm_src 0
		.amdhsa_exception_fp_ieee_div_zero 0
		.amdhsa_exception_fp_ieee_overflow 0
		.amdhsa_exception_fp_ieee_underflow 0
		.amdhsa_exception_fp_ieee_inexact 0
		.amdhsa_exception_int_div_zero 0
	.end_amdhsa_kernel
	.text
.Lfunc_end9:
	.size	_ZN4vllm4gptq19shuffle_2bit_kernelEPjii, .Lfunc_end9-_ZN4vllm4gptq19shuffle_2bit_kernelEPjii
                                        ; -- End function
	.section	.AMDGPU.csdata,"",@progbits
; Kernel info:
; codeLenInByte = 368
; NumSgprs: 14
; NumVgprs: 18
; NumAgprs: 0
; TotalNumVgprs: 18
; ScratchSize: 0
; MemoryBound: 0
; FloatMode: 240
; IeeeMode: 1
; LDSByteSize: 0 bytes/workgroup (compile time only)
; SGPRBlocks: 1
; VGPRBlocks: 2
; NumSGPRsForWavesPerEU: 14
; NumVGPRsForWavesPerEU: 18
; AccumOffset: 20
; Occupancy: 8
; WaveLimiterHint : 0
; COMPUTE_PGM_RSRC2:SCRATCH_EN: 0
; COMPUTE_PGM_RSRC2:USER_SGPR: 6
; COMPUTE_PGM_RSRC2:TRAP_HANDLER: 0
; COMPUTE_PGM_RSRC2:TGID_X_EN: 1
; COMPUTE_PGM_RSRC2:TGID_Y_EN: 0
; COMPUTE_PGM_RSRC2:TGID_Z_EN: 0
; COMPUTE_PGM_RSRC2:TIDIG_COMP_CNT: 0
; COMPUTE_PGM_RSRC3_GFX90A:ACCUM_OFFSET: 4
; COMPUTE_PGM_RSRC3_GFX90A:TG_SPLIT: 0
	.text
	.protected	_ZN4vllm4gptq19shuffle_3bit_kernelEPjii ; -- Begin function _ZN4vllm4gptq19shuffle_3bit_kernelEPjii
	.globl	_ZN4vllm4gptq19shuffle_3bit_kernelEPjii
	.p2align	8
	.type	_ZN4vllm4gptq19shuffle_3bit_kernelEPjii,@function
_ZN4vllm4gptq19shuffle_3bit_kernelEPjii: ; @_ZN4vllm4gptq19shuffle_3bit_kernelEPjii
; %bb.0:
	s_load_dwordx2 s[0:1], s[4:5], 0x8
	v_lshl_add_u32 v0, s6, 5, v0
	s_mov_b32 s7, 0
	s_waitcnt lgkmcnt(0)
	s_cmp_gt_i32 s0, 0
	v_cmp_gt_u32_e32 vcc, s1, v0
	s_cselect_b64 s[2:3], -1, 0
	s_and_b64 s[2:3], vcc, s[2:3]
	s_and_saveexec_b64 s[8:9], s[2:3]
	s_cbranch_execz .LBB10_3
; %bb.1:
	s_load_dwordx2 s[2:3], s[4:5], 0x0
	v_mov_b32_e32 v1, 0
	v_lshlrev_b64 v[0:1], 2, v[0:1]
	s_ashr_i32 s5, s1, 31
	s_mov_b32 s4, s1
	s_waitcnt lgkmcnt(0)
	v_mov_b32_e32 v2, s3
	v_add_co_u32_e32 v0, vcc, s2, v0
	s_lshl_b64 s[2:3], s[4:5], 2
	s_lshl_b64 s[4:5], s[4:5], 3
	s_mul_hi_i32 s8, s1, 12
	v_addc_co_u32_e32 v1, vcc, v2, v1, vcc
	s_mul_i32 s1, s1, 12
	v_mov_b32_e32 v6, s3
	v_mov_b32_e32 v7, s5
	s_mov_b32 s3, 0x70000
	s_mov_b32 s5, 0x8000
	s_brev_b32 s6, 1
	v_mov_b32_e32 v8, s8
.LBB10_2:                               ; =>This Inner Loop Header: Depth=1
	v_add_co_u32_e32 v2, vcc, s2, v0
	global_load_dword v9, v[0:1], off
	v_addc_co_u32_e32 v3, vcc, v1, v6, vcc
	v_add_co_u32_e32 v4, vcc, s4, v0
	v_addc_co_u32_e32 v5, vcc, v1, v7, vcc
	global_load_dword v10, v[2:3], off
	global_load_dword v11, v[4:5], off
	s_add_i32 s7, s7, 32
	s_cmp_lt_i32 s7, s0
	s_waitcnt vmcnt(2)
	v_and_b32_e32 v12, 7, v9
	v_lshlrev_b32_e32 v13, 13, v9
	v_lshrrev_b32_e32 v14, 3, v9
	v_lshlrev_b32_e32 v15, 10, v9
	v_lshrrev_b32_e32 v16, 6, v9
	;; [unrolled: 2-line block ×4, first 2 shown]
	v_lshlrev_b32_e32 v21, 1, v9
	v_and_or_b32 v12, v13, s3, v12
	v_and_b32_e32 v13, 56, v14
	v_and_b32_e32 v14, 0x380000, v15
	s_waitcnt vmcnt(1)
	v_alignbit_b32 v9, v10, v9, 30
	s_waitcnt vmcnt(0)
	v_alignbit_b32 v22, v11, v10, 28
	v_and_b32_e32 v15, 0x1c0, v16
	v_and_b32_e32 v16, 0x1c00000, v17
	;; [unrolled: 1-line block ×3, first 2 shown]
	v_lshrrev_b32_e32 v21, 12, v11
	v_lshlrev_b32_e32 v25, 1, v11
	v_or3_b32 v12, v12, v13, v14
	v_and_b32_e32 v13, 7, v9
	v_lshlrev_b32_e32 v14, 13, v9
	v_and_b32_e32 v17, 0xe00, v18
	v_and_b32_e32 v18, 0xe000000, v19
	;; [unrolled: 1-line block ×3, first 2 shown]
	v_lshrrev_b32_e32 v20, 11, v11
	v_lshrrev_b32_e32 v23, 13, v11
	v_lshlrev_b32_e32 v24, 2, v11
	v_and_b32_e32 v11, 0x80000000, v11
	v_lshrrev_b32_e32 v26, 3, v9
	v_lshlrev_b32_e32 v27, 10, v9
	v_lshrrev_b32_e32 v30, 9, v9
	v_lshlrev_b32_e32 v34, 13, v22
	v_and_b32_e32 v21, 0x8000, v21
	v_or3_b32 v12, v12, v15, v16
	v_and_b32_e32 v14, 0x70000, v14
	v_and_or_b32 v13, v25, s6, v13
	v_lshrrev_b32_e32 v28, 6, v9
	v_lshlrev_b32_e32 v29, 7, v9
	v_lshlrev_b32_e32 v31, 4, v9
	v_lshrrev_b32_e32 v32, 12, v9
	v_and_b32_e32 v33, 7, v22
	v_lshrrev_b32_e32 v35, 3, v22
	v_lshlrev_b32_e32 v36, 10, v22
	v_and_or_b32 v11, v23, s5, v11
	v_and_b32_e32 v15, 56, v26
	v_and_b32_e32 v16, 0x380000, v27
	;; [unrolled: 1-line block ×4, first 2 shown]
	v_or3_b32 v12, v12, v17, v18
	v_or3_b32 v13, v13, v21, v14
	v_lshrrev_b32_e32 v37, 6, v22
	v_lshlrev_b32_e32 v38, 7, v22
	v_and_b32_e32 v20, 0x8000, v20
	v_and_b32_e32 v24, 0x80000000, v24
	;; [unrolled: 1-line block ×8, first 2 shown]
	v_or3_b32 v11, v11, v33, v30
	v_or3_b32 v10, v12, v19, v10
	;; [unrolled: 1-line block ×3, first 2 shown]
	v_lshrrev_b32_e32 v39, 9, v22
	v_lshlrev_b32_e32 v40, 4, v22
	v_lshlrev_b32_e32 v9, 1, v9
	v_and_b32_e32 v34, 0x1c0, v37
	v_and_b32_e32 v35, 0x1c00000, v38
	v_or3_b32 v11, v11, v31, v32
	v_or3_b32 v10, v10, v24, v20
	;; [unrolled: 1-line block ×3, first 2 shown]
	v_lshrrev_b32_e32 v41, 12, v22
	v_lshlrev_b32_e32 v22, 1, v22
	v_and_b32_e32 v36, 0xe00, v39
	v_and_b32_e32 v37, 0xe000000, v40
	;; [unrolled: 1-line block ×3, first 2 shown]
	v_or3_b32 v11, v11, v34, v35
	v_or3_b32 v12, v12, v27, v28
	global_store_dword v[0:1], v10, off
	v_add_co_u32_e32 v0, vcc, s1, v0
	v_and_b32_e32 v38, 0x7000, v41
	v_and_b32_e32 v22, 0x70000000, v22
	v_or3_b32 v11, v11, v36, v37
	v_addc_co_u32_e32 v1, vcc, v1, v8, vcc
	v_or3_b32 v9, v12, v29, v9
	v_or3_b32 v10, v11, v38, v22
	global_store_dword v[2:3], v9, off
	global_store_dword v[4:5], v10, off
	s_cbranch_scc1 .LBB10_2
.LBB10_3:
	s_endpgm
	.section	.rodata,"a",@progbits
	.p2align	6, 0x0
	.amdhsa_kernel _ZN4vllm4gptq19shuffle_3bit_kernelEPjii
		.amdhsa_group_segment_fixed_size 0
		.amdhsa_private_segment_fixed_size 0
		.amdhsa_kernarg_size 16
		.amdhsa_user_sgpr_count 6
		.amdhsa_user_sgpr_private_segment_buffer 1
		.amdhsa_user_sgpr_dispatch_ptr 0
		.amdhsa_user_sgpr_queue_ptr 0
		.amdhsa_user_sgpr_kernarg_segment_ptr 1
		.amdhsa_user_sgpr_dispatch_id 0
		.amdhsa_user_sgpr_flat_scratch_init 0
		.amdhsa_user_sgpr_kernarg_preload_length 0
		.amdhsa_user_sgpr_kernarg_preload_offset 0
		.amdhsa_user_sgpr_private_segment_size 0
		.amdhsa_uses_dynamic_stack 0
		.amdhsa_system_sgpr_private_segment_wavefront_offset 0
		.amdhsa_system_sgpr_workgroup_id_x 1
		.amdhsa_system_sgpr_workgroup_id_y 0
		.amdhsa_system_sgpr_workgroup_id_z 0
		.amdhsa_system_sgpr_workgroup_info 0
		.amdhsa_system_vgpr_workitem_id 0
		.amdhsa_next_free_vgpr 42
		.amdhsa_next_free_sgpr 10
		.amdhsa_accum_offset 44
		.amdhsa_reserve_vcc 1
		.amdhsa_reserve_flat_scratch 0
		.amdhsa_float_round_mode_32 0
		.amdhsa_float_round_mode_16_64 0
		.amdhsa_float_denorm_mode_32 3
		.amdhsa_float_denorm_mode_16_64 3
		.amdhsa_dx10_clamp 1
		.amdhsa_ieee_mode 1
		.amdhsa_fp16_overflow 0
		.amdhsa_tg_split 0
		.amdhsa_exception_fp_ieee_invalid_op 0
		.amdhsa_exception_fp_denorm_src 0
		.amdhsa_exception_fp_ieee_div_zero 0
		.amdhsa_exception_fp_ieee_overflow 0
		.amdhsa_exception_fp_ieee_underflow 0
		.amdhsa_exception_fp_ieee_inexact 0
		.amdhsa_exception_int_div_zero 0
	.end_amdhsa_kernel
	.text
.Lfunc_end10:
	.size	_ZN4vllm4gptq19shuffle_3bit_kernelEPjii, .Lfunc_end10-_ZN4vllm4gptq19shuffle_3bit_kernelEPjii
                                        ; -- End function
	.section	.AMDGPU.csdata,"",@progbits
; Kernel info:
; codeLenInByte = 768
; NumSgprs: 14
; NumVgprs: 42
; NumAgprs: 0
; TotalNumVgprs: 42
; ScratchSize: 0
; MemoryBound: 0
; FloatMode: 240
; IeeeMode: 1
; LDSByteSize: 0 bytes/workgroup (compile time only)
; SGPRBlocks: 1
; VGPRBlocks: 5
; NumSGPRsForWavesPerEU: 14
; NumVGPRsForWavesPerEU: 42
; AccumOffset: 44
; Occupancy: 8
; WaveLimiterHint : 0
; COMPUTE_PGM_RSRC2:SCRATCH_EN: 0
; COMPUTE_PGM_RSRC2:USER_SGPR: 6
; COMPUTE_PGM_RSRC2:TRAP_HANDLER: 0
; COMPUTE_PGM_RSRC2:TGID_X_EN: 1
; COMPUTE_PGM_RSRC2:TGID_Y_EN: 0
; COMPUTE_PGM_RSRC2:TGID_Z_EN: 0
; COMPUTE_PGM_RSRC2:TIDIG_COMP_CNT: 0
; COMPUTE_PGM_RSRC3_GFX90A:ACCUM_OFFSET: 10
; COMPUTE_PGM_RSRC3_GFX90A:TG_SPLIT: 0
	.text
	.protected	_ZN4vllm4gptq27make_sequential_4bit_kernelEPKjPjPKii ; -- Begin function _ZN4vllm4gptq27make_sequential_4bit_kernelEPKjPjPKii
	.globl	_ZN4vllm4gptq27make_sequential_4bit_kernelEPKjPjPKii
	.p2align	8
	.type	_ZN4vllm4gptq27make_sequential_4bit_kernelEPKjPjPKii,@function
_ZN4vllm4gptq27make_sequential_4bit_kernelEPKjPjPKii: ; @_ZN4vllm4gptq27make_sequential_4bit_kernelEPKjPjPKii
; %bb.0:
	s_load_dword s0, s[4:5], 0x18
	v_lshl_add_u32 v2, s6, 5, v0
	s_waitcnt lgkmcnt(0)
	s_ashr_i32 s16, s0, 1
	v_cmp_gt_u32_e32 vcc, s16, v2
	s_and_saveexec_b64 s[0:1], vcc
	s_cbranch_execz .LBB11_2
; %bb.1:
	s_load_dwordx2 s[0:1], s[4:5], 0x10
	s_lshl_b32 s2, s7, 3
	s_ashr_i32 s3, s2, 31
	s_lshl_b64 s[2:3], s[2:3], 2
	v_mov_b32_e32 v1, 0
	s_waitcnt lgkmcnt(0)
	s_add_u32 s18, s0, s2
	s_addc_u32 s19, s1, s3
	s_load_dwordx8 s[8:15], s[18:19], 0x0
	s_load_dwordx4 s[0:3], s[4:5], 0x0
	v_mov_b32_e32 v5, v1
	s_waitcnt lgkmcnt(0)
	s_ashr_i32 s5, s8, 3
	s_mul_i32 s5, s5, s16
	s_ashr_i32 s4, s9, 3
	v_add_u32_e32 v0, s5, v2
	s_mul_i32 s4, s4, s16
	v_lshlrev_b64 v[6:7], 3, v[0:1]
	v_add_u32_e32 v4, s4, v2
	v_mov_b32_e32 v3, s1
	v_add_co_u32_e32 v6, vcc, s0, v6
	s_ashr_i32 s4, s10, 3
	v_addc_co_u32_e32 v7, vcc, v3, v7, vcc
	v_lshlrev_b64 v[4:5], 3, v[4:5]
	s_mul_i32 s4, s4, s16
	v_add_co_u32_e32 v4, vcc, s0, v4
	s_ashr_i32 s1, s11, 3
	v_add_u32_e32 v0, s4, v2
	v_addc_co_u32_e32 v5, vcc, v3, v5, vcc
	global_load_dwordx2 v[8:9], v[6:7], off
	global_load_dwordx2 v[10:11], v[4:5], off
	s_mul_i32 s1, s1, s16
	v_lshlrev_b64 v[6:7], 3, v[0:1]
	v_add_u32_e32 v4, s1, v2
	v_add_co_u32_e32 v6, vcc, s0, v6
	v_mov_b32_e32 v5, v1
	v_addc_co_u32_e32 v7, vcc, v3, v7, vcc
	v_lshlrev_b64 v[4:5], 3, v[4:5]
	s_ashr_i32 s4, s12, 3
	v_add_co_u32_e32 v4, vcc, s0, v4
	s_mul_i32 s4, s4, s16
	v_addc_co_u32_e32 v5, vcc, v3, v5, vcc
	global_load_dwordx2 v[12:13], v[6:7], off
	global_load_dwordx2 v[14:15], v[4:5], off
	s_ashr_i32 s1, s13, 3
	v_add_u32_e32 v0, s4, v2
	s_mul_i32 s1, s1, s16
	v_lshlrev_b64 v[6:7], 3, v[0:1]
	v_add_u32_e32 v4, s1, v2
	v_add_co_u32_e32 v6, vcc, s0, v6
	v_mov_b32_e32 v5, v1
	s_ashr_i32 s4, s14, 3
	v_addc_co_u32_e32 v7, vcc, v3, v7, vcc
	v_lshlrev_b64 v[4:5], 3, v[4:5]
	s_mul_i32 s4, s4, s16
	v_add_co_u32_e32 v4, vcc, s0, v4
	s_ashr_i32 s1, s15, 3
	v_add_u32_e32 v0, s4, v2
	v_addc_co_u32_e32 v5, vcc, v3, v5, vcc
	global_load_dwordx2 v[16:17], v[6:7], off
	global_load_dwordx2 v[18:19], v[4:5], off
	s_mul_i32 s1, s1, s16
	v_lshlrev_b64 v[6:7], 3, v[0:1]
	v_add_u32_e32 v4, s1, v2
	v_add_co_u32_e32 v6, vcc, s0, v6
	v_mov_b32_e32 v5, v1
	v_addc_co_u32_e32 v7, vcc, v3, v7, vcc
	v_lshlrev_b64 v[4:5], 3, v[4:5]
	global_load_dwordx2 v[6:7], v[6:7], off
	v_add_co_u32_e32 v4, vcc, s0, v4
	v_addc_co_u32_e32 v5, vcc, v3, v5, vcc
	global_load_dwordx2 v[4:5], v[4:5], off
	s_lshl_b32 s0, s8, 2
	s_lshl_b32 s1, s9, 2
	s_and_b32 s0, s0, 28
	s_and_b32 s1, s1, 28
	s_lshl_b32 s4, s10, 2
	s_and_b32 s4, s4, 28
	s_mul_i32 s16, s16, s7
	s_waitcnt vmcnt(7)
	v_lshrrev_b64 v[8:9], s0, v[8:9]
	s_waitcnt vmcnt(6)
	v_lshrrev_b64 v[10:11], s1, v[10:11]
	v_and_b32_e32 v0, 15, v9
	v_and_b32_e32 v3, 15, v8
	v_lshlrev_b64 v[8:9], 4, v[10:11]
	v_and_b32_e32 v9, 0xf0, v9
	v_and_b32_e32 v8, 0xf0, v8
	v_or_b32_e32 v0, v9, v0
	v_or_b32_e32 v3, v8, v3
	s_lshl_b32 s0, s11, 2
	s_and_b32 s0, s0, 28
	s_waitcnt vmcnt(5)
	v_lshrrev_b64 v[8:9], s4, v[12:13]
	v_lshlrev_b64 v[8:9], 8, v[8:9]
	v_and_b32_e32 v10, 0xf00, v9
	v_and_b32_e32 v11, 0xf00, v8
	s_waitcnt vmcnt(4)
	v_lshrrev_b64 v[8:9], s0, v[14:15]
	v_lshlrev_b64 v[8:9], 12, v[8:9]
	s_lshl_b32 s0, s12, 2
	v_and_b32_e32 v9, 0xf000, v9
	v_and_b32_e32 v8, 0xf000, v8
	s_and_b32 s0, s0, 28
	v_or3_b32 v0, v10, v0, v9
	v_or3_b32 v3, v11, v3, v8
	s_waitcnt vmcnt(3)
	v_lshrrev_b64 v[8:9], s0, v[16:17]
	s_lshl_b32 s0, s13, 2
	v_lshlrev_b64 v[8:9], 16, v[8:9]
	s_and_b32 s0, s0, 28
	v_and_b32_e32 v10, 0xf0000, v9
	v_and_b32_e32 v11, 0xf0000, v8
	s_waitcnt vmcnt(2)
	v_lshrrev_b64 v[8:9], s0, v[18:19]
	s_lshl_b32 s0, s14, 2
	s_and_b32 s0, s0, 28
	v_lshlrev_b64 v[8:9], 20, v[8:9]
	v_and_b32_e32 v9, 0xf00000, v9
	s_waitcnt vmcnt(1)
	v_lshrrev_b64 v[6:7], s0, v[6:7]
	s_lshl_b32 s0, s15, 2
	s_and_b32 s0, s0, 28
	v_lshlrev_b64 v[6:7], 24, v[6:7]
	v_or3_b32 v0, v10, v0, v9
	s_waitcnt vmcnt(0)
	v_lshrrev_b64 v[4:5], s0, v[4:5]
	v_lshlrev_b64 v[4:5], 28, v[4:5]
	v_and_b32_e32 v7, 0xf000000, v7
	v_and_b32_e32 v5, 0xf0000000, v5
	v_or3_b32 v5, v7, v0, v5
	v_add_u32_e32 v0, s16, v2
	v_and_b32_e32 v8, 0xf00000, v8
	v_lshlrev_b64 v[0:1], 3, v[0:1]
	v_or3_b32 v3, v11, v3, v8
	v_and_b32_e32 v6, 0xf000000, v6
	v_mov_b32_e32 v2, s3
	v_add_co_u32_e32 v0, vcc, s2, v0
	v_or3_b32 v4, v6, v3, v4
	v_addc_co_u32_e32 v1, vcc, v2, v1, vcc
	global_store_dwordx2 v[0:1], v[4:5], off
.LBB11_2:
	s_endpgm
	.section	.rodata,"a",@progbits
	.p2align	6, 0x0
	.amdhsa_kernel _ZN4vllm4gptq27make_sequential_4bit_kernelEPKjPjPKii
		.amdhsa_group_segment_fixed_size 0
		.amdhsa_private_segment_fixed_size 0
		.amdhsa_kernarg_size 28
		.amdhsa_user_sgpr_count 6
		.amdhsa_user_sgpr_private_segment_buffer 1
		.amdhsa_user_sgpr_dispatch_ptr 0
		.amdhsa_user_sgpr_queue_ptr 0
		.amdhsa_user_sgpr_kernarg_segment_ptr 1
		.amdhsa_user_sgpr_dispatch_id 0
		.amdhsa_user_sgpr_flat_scratch_init 0
		.amdhsa_user_sgpr_kernarg_preload_length 0
		.amdhsa_user_sgpr_kernarg_preload_offset 0
		.amdhsa_user_sgpr_private_segment_size 0
		.amdhsa_uses_dynamic_stack 0
		.amdhsa_system_sgpr_private_segment_wavefront_offset 0
		.amdhsa_system_sgpr_workgroup_id_x 1
		.amdhsa_system_sgpr_workgroup_id_y 1
		.amdhsa_system_sgpr_workgroup_id_z 0
		.amdhsa_system_sgpr_workgroup_info 0
		.amdhsa_system_vgpr_workitem_id 0
		.amdhsa_next_free_vgpr 20
		.amdhsa_next_free_sgpr 20
		.amdhsa_accum_offset 20
		.amdhsa_reserve_vcc 1
		.amdhsa_reserve_flat_scratch 0
		.amdhsa_float_round_mode_32 0
		.amdhsa_float_round_mode_16_64 0
		.amdhsa_float_denorm_mode_32 3
		.amdhsa_float_denorm_mode_16_64 3
		.amdhsa_dx10_clamp 1
		.amdhsa_ieee_mode 1
		.amdhsa_fp16_overflow 0
		.amdhsa_tg_split 0
		.amdhsa_exception_fp_ieee_invalid_op 0
		.amdhsa_exception_fp_denorm_src 0
		.amdhsa_exception_fp_ieee_div_zero 0
		.amdhsa_exception_fp_ieee_overflow 0
		.amdhsa_exception_fp_ieee_underflow 0
		.amdhsa_exception_fp_ieee_inexact 0
		.amdhsa_exception_int_div_zero 0
	.end_amdhsa_kernel
	.text
.Lfunc_end11:
	.size	_ZN4vllm4gptq27make_sequential_4bit_kernelEPKjPjPKii, .Lfunc_end11-_ZN4vllm4gptq27make_sequential_4bit_kernelEPKjPjPKii
                                        ; -- End function
	.section	.AMDGPU.csdata,"",@progbits
; Kernel info:
; codeLenInByte = 824
; NumSgprs: 24
; NumVgprs: 20
; NumAgprs: 0
; TotalNumVgprs: 20
; ScratchSize: 0
; MemoryBound: 0
; FloatMode: 240
; IeeeMode: 1
; LDSByteSize: 0 bytes/workgroup (compile time only)
; SGPRBlocks: 2
; VGPRBlocks: 2
; NumSGPRsForWavesPerEU: 24
; NumVGPRsForWavesPerEU: 20
; AccumOffset: 20
; Occupancy: 8
; WaveLimiterHint : 0
; COMPUTE_PGM_RSRC2:SCRATCH_EN: 0
; COMPUTE_PGM_RSRC2:USER_SGPR: 6
; COMPUTE_PGM_RSRC2:TRAP_HANDLER: 0
; COMPUTE_PGM_RSRC2:TGID_X_EN: 1
; COMPUTE_PGM_RSRC2:TGID_Y_EN: 1
; COMPUTE_PGM_RSRC2:TGID_Z_EN: 0
; COMPUTE_PGM_RSRC2:TIDIG_COMP_CNT: 0
; COMPUTE_PGM_RSRC3_GFX90A:ACCUM_OFFSET: 4
; COMPUTE_PGM_RSRC3_GFX90A:TG_SPLIT: 0
	.text
	.protected	_ZN4vllm4gptq27make_sequential_2bit_kernelEPKjPjPKii ; -- Begin function _ZN4vllm4gptq27make_sequential_2bit_kernelEPKjPjPKii
	.globl	_ZN4vllm4gptq27make_sequential_2bit_kernelEPKjPjPKii
	.p2align	8
	.type	_ZN4vllm4gptq27make_sequential_2bit_kernelEPKjPjPKii,@function
_ZN4vllm4gptq27make_sequential_2bit_kernelEPKjPjPKii: ; @_ZN4vllm4gptq27make_sequential_2bit_kernelEPKjPjPKii
; %bb.0:
	s_load_dword s0, s[4:5], 0x18
	v_lshl_add_u32 v16, s6, 5, v0
	s_waitcnt lgkmcnt(0)
	s_ashr_i32 s24, s0, 1
	v_cmp_gt_u32_e32 vcc, s24, v16
	s_and_saveexec_b64 s[0:1], vcc
	s_cbranch_execz .LBB12_2
; %bb.1:
	s_load_dwordx2 s[0:1], s[4:5], 0x10
	s_lshl_b32 s2, s7, 4
	s_ashr_i32 s3, s2, 31
	s_lshl_b64 s[2:3], s[2:3], 2
	v_mov_b32_e32 v1, 0
	s_waitcnt lgkmcnt(0)
	s_add_u32 s26, s0, s2
	s_addc_u32 s27, s1, s3
	s_load_dwordx16 s[8:23], s[26:27], 0x0
	s_load_dwordx4 s[0:3], s[4:5], 0x0
	v_mov_b32_e32 v3, v1
	s_waitcnt lgkmcnt(0)
	s_ashr_i32 s5, s8, 4
	s_mul_i32 s5, s5, s24
	s_ashr_i32 s4, s9, 4
	v_add_u32_e32 v0, s5, v16
	s_mul_i32 s4, s4, s24
	v_lshlrev_b64 v[4:5], 3, v[0:1]
	v_add_u32_e32 v2, s4, v16
	v_mov_b32_e32 v17, s1
	v_add_co_u32_e32 v4, vcc, s0, v4
	s_ashr_i32 s4, s10, 4
	v_addc_co_u32_e32 v5, vcc, v17, v5, vcc
	v_lshlrev_b64 v[2:3], 3, v[2:3]
	s_mul_i32 s4, s4, s24
	v_add_co_u32_e32 v2, vcc, s0, v2
	s_ashr_i32 s1, s11, 4
	v_add_u32_e32 v0, s4, v16
	v_addc_co_u32_e32 v3, vcc, v17, v3, vcc
	global_load_dwordx2 v[6:7], v[4:5], off
	global_load_dwordx2 v[8:9], v[2:3], off
	s_mul_i32 s1, s1, s24
	v_lshlrev_b64 v[4:5], 3, v[0:1]
	v_add_u32_e32 v2, s1, v16
	v_add_co_u32_e32 v4, vcc, s0, v4
	v_mov_b32_e32 v3, v1
	v_addc_co_u32_e32 v5, vcc, v17, v5, vcc
	v_lshlrev_b64 v[2:3], 3, v[2:3]
	v_add_co_u32_e32 v2, vcc, s0, v2
	v_addc_co_u32_e32 v3, vcc, v17, v3, vcc
	global_load_dwordx2 v[10:11], v[4:5], off
	global_load_dwordx2 v[12:13], v[2:3], off
	s_lshl_b32 s1, s8, 1
	s_ashr_i32 s8, s13, 4
	s_mul_i32 s8, s8, s24
	v_mov_b32_e32 v3, v1
	s_lshl_b32 s4, s9, 1
	s_ashr_i32 s9, s12, 4
	v_add_u32_e32 v2, s8, v16
	s_mul_i32 s9, s9, s24
	v_lshlrev_b64 v[2:3], 3, v[2:3]
	s_lshl_b32 s6, s11, 1
	s_ashr_i32 s11, s14, 4
	v_add_u32_e32 v0, s9, v16
	v_add_co_u32_e32 v14, vcc, s0, v2
	s_mul_i32 s11, s11, s24
	v_addc_co_u32_e32 v15, vcc, v17, v3, vcc
	v_lshlrev_b64 v[2:3], 3, v[0:1]
	v_add_u32_e32 v0, s11, v16
	v_add_co_u32_e32 v18, vcc, s0, v2
	v_addc_co_u32_e32 v19, vcc, v17, v3, vcc
	v_lshlrev_b64 v[2:3], 3, v[0:1]
	s_lshl_b32 s5, s10, 1
	s_and_b32 s1, s1, 30
	s_and_b32 s4, s4, 30
	v_add_co_u32_e32 v20, vcc, s0, v2
	s_and_b32 s5, s5, 30
	s_and_b32 s6, s6, 30
	v_addc_co_u32_e32 v21, vcc, v17, v3, vcc
	s_ashr_i32 s10, s15, 4
	s_mul_i32 s10, s10, s24
	v_add_u32_e32 v4, s10, v16
	s_waitcnt vmcnt(3)
	v_lshrrev_b64 v[2:3], s1, v[6:7]
	s_waitcnt vmcnt(2)
	v_lshrrev_b64 v[6:7], s4, v[8:9]
	v_and_b32_e32 v0, 3, v3
	v_and_b32_e32 v5, 3, v2
	v_lshlrev_b64 v[2:3], 2, v[6:7]
	s_ashr_i32 s4, s16, 4
	s_mul_i32 s4, s4, s24
	s_ashr_i32 s1, s17, 4
	s_mul_i32 s1, s1, s24
	s_waitcnt vmcnt(1)
	v_lshrrev_b64 v[6:7], s5, v[10:11]
	s_waitcnt vmcnt(0)
	v_lshrrev_b64 v[8:9], s6, v[12:13]
	v_and_b32_e32 v10, 12, v3
	v_and_b32_e32 v11, 12, v2
	v_lshlrev_b64 v[2:3], 4, v[6:7]
	v_lshlrev_b64 v[6:7], 6, v[8:9]
	v_or_b32_e32 v0, v10, v0
	v_or_b32_e32 v28, v11, v5
	v_and_b32_e32 v3, 48, v3
	v_and_b32_e32 v29, 48, v2
	;; [unrolled: 1-line block ×3, first 2 shown]
	v_mov_b32_e32 v5, v1
	v_or3_b32 v31, v3, v0, v2
	v_lshlrev_b64 v[2:3], 3, v[4:5]
	v_add_co_u32_e32 v10, vcc, s0, v2
	v_and_b32_e32 v30, 0xc0, v6
	v_addc_co_u32_e32 v11, vcc, v17, v3, vcc
	global_load_dwordx2 v[8:9], v[18:19], off
	global_load_dwordx2 v[6:7], v[14:15], off
	;; [unrolled: 1-line block ×4, first 2 shown]
	v_add_u32_e32 v0, s4, v16
	v_lshlrev_b64 v[12:13], 3, v[0:1]
	v_add_u32_e32 v10, s1, v16
	v_add_co_u32_e32 v14, vcc, s0, v12
	v_mov_b32_e32 v11, v1
	v_addc_co_u32_e32 v15, vcc, v17, v13, vcc
	v_lshlrev_b64 v[10:11], 3, v[10:11]
	s_ashr_i32 s4, s18, 4
	v_add_co_u32_e32 v18, vcc, s0, v10
	s_mul_i32 s4, s4, s24
	v_addc_co_u32_e32 v19, vcc, v17, v11, vcc
	global_load_dwordx2 v[12:13], v[14:15], off
	global_load_dwordx2 v[10:11], v[18:19], off
	s_ashr_i32 s1, s19, 4
	v_add_u32_e32 v0, s4, v16
	s_mul_i32 s1, s1, s24
	v_lshlrev_b64 v[18:19], 3, v[0:1]
	v_add_u32_e32 v14, s1, v16
	v_add_co_u32_e32 v18, vcc, s0, v18
	v_mov_b32_e32 v15, v1
	v_addc_co_u32_e32 v19, vcc, v17, v19, vcc
	v_lshlrev_b64 v[14:15], 3, v[14:15]
	s_ashr_i32 s4, s20, 4
	v_add_co_u32_e32 v20, vcc, s0, v14
	s_mul_i32 s4, s4, s24
	v_addc_co_u32_e32 v21, vcc, v17, v15, vcc
	global_load_dwordx2 v[22:23], v[18:19], off
	global_load_dwordx2 v[14:15], v[20:21], off
	s_ashr_i32 s1, s21, 4
	v_add_u32_e32 v0, s4, v16
	s_mul_i32 s1, s1, s24
	;; [unrolled: 15-line block ×3, first 2 shown]
	v_lshlrev_b64 v[20:21], 3, v[0:1]
	v_add_u32_e32 v18, s1, v16
	v_add_co_u32_e32 v20, vcc, s0, v20
	v_mov_b32_e32 v19, v1
	v_addc_co_u32_e32 v21, vcc, v17, v21, vcc
	v_lshlrev_b64 v[18:19], 3, v[18:19]
	global_load_dwordx2 v[20:21], v[20:21], off
	v_add_co_u32_e32 v18, vcc, s0, v18
	v_addc_co_u32_e32 v19, vcc, v17, v19, vcc
	global_load_dwordx2 v[18:19], v[18:19], off
	s_lshl_b32 s0, s12, 1
	s_and_b32 s0, s0, 30
	v_or3_b32 v0, v29, v28, v30
	s_mul_i32 s24, s24, s7
	s_waitcnt vmcnt(11)
	v_lshrrev_b64 v[8:9], s0, v[8:9]
	s_lshl_b32 s0, s13, 1
	s_and_b32 s0, s0, 30
	s_waitcnt vmcnt(10)
	v_lshrrev_b64 v[6:7], s0, v[6:7]
	s_lshl_b32 s0, s14, 1
	s_and_b32 s0, s0, 30
	s_waitcnt vmcnt(9)
	v_lshrrev_b64 v[4:5], s0, v[4:5]
	s_lshl_b32 s0, s15, 1
	s_and_b32 s0, s0, 30
	v_lshlrev_b64 v[8:9], 8, v[8:9]
	v_lshlrev_b64 v[6:7], 10, v[6:7]
	s_waitcnt vmcnt(8)
	v_lshrrev_b64 v[2:3], s0, v[2:3]
	v_and_b32_e32 v9, 0x300, v9
	v_and_b32_e32 v8, 0x300, v8
	;; [unrolled: 1-line block ×4, first 2 shown]
	v_lshlrev_b64 v[4:5], 12, v[4:5]
	v_lshlrev_b64 v[2:3], 14, v[2:3]
	s_lshl_b32 s0, s16, 1
	v_or3_b32 v7, v9, v31, v7
	v_or3_b32 v0, v8, v0, v6
	v_and_b32_e32 v5, 0x3000, v5
	v_and_b32_e32 v4, 0x3000, v4
	;; [unrolled: 1-line block ×4, first 2 shown]
	s_and_b32 s0, s0, 30
	v_or3_b32 v5, v5, v7, v3
	v_or3_b32 v0, v4, v0, v2
	s_waitcnt vmcnt(7)
	v_lshrrev_b64 v[2:3], s0, v[12:13]
	s_lshl_b32 s0, s17, 1
	v_lshlrev_b64 v[2:3], 16, v[2:3]
	s_and_b32 s0, s0, 30
	v_and_b32_e32 v4, 0x30000, v3
	v_and_b32_e32 v6, 0x30000, v2
	s_waitcnt vmcnt(6)
	v_lshrrev_b64 v[2:3], s0, v[10:11]
	v_lshlrev_b64 v[2:3], 18, v[2:3]
	s_lshl_b32 s0, s18, 1
	v_and_b32_e32 v3, 0xc0000, v3
	v_and_b32_e32 v2, 0xc0000, v2
	s_and_b32 s0, s0, 30
	v_or3_b32 v4, v4, v5, v3
	v_or3_b32 v0, v6, v0, v2
	s_waitcnt vmcnt(5)
	v_lshrrev_b64 v[2:3], s0, v[22:23]
	s_lshl_b32 s0, s19, 1
	v_lshlrev_b64 v[2:3], 20, v[2:3]
	s_and_b32 s0, s0, 30
	v_and_b32_e32 v5, 0x300000, v3
	v_and_b32_e32 v6, 0x300000, v2
	s_waitcnt vmcnt(4)
	v_lshrrev_b64 v[2:3], s0, v[14:15]
	v_lshlrev_b64 v[2:3], 22, v[2:3]
	s_lshl_b32 s0, s20, 1
	v_and_b32_e32 v3, 0xc00000, v3
	v_and_b32_e32 v2, 0xc00000, v2
	;; [unrolled: 16-line block ×3, first 2 shown]
	s_and_b32 s0, s0, 30
	v_or3_b32 v4, v5, v4, v3
	v_or3_b32 v0, v6, v0, v2
	s_waitcnt vmcnt(1)
	v_lshrrev_b64 v[2:3], s0, v[20:21]
	s_lshl_b32 s0, s23, 1
	v_lshlrev_b64 v[2:3], 28, v[2:3]
	s_and_b32 s0, s0, 30
	v_and_b32_e32 v5, 0x30000000, v3
	v_and_b32_e32 v6, 0x30000000, v2
	s_waitcnt vmcnt(0)
	v_lshrrev_b64 v[2:3], s0, v[18:19]
	v_lshlrev_b64 v[2:3], 30, v[2:3]
	v_or3_b32 v2, v6, v0, v2
	v_add_u32_e32 v0, s24, v16
	v_and_b32_e32 v3, -2.0, v3
	v_lshlrev_b64 v[0:1], 3, v[0:1]
	v_or3_b32 v3, v5, v4, v3
	v_mov_b32_e32 v4, s3
	v_add_co_u32_e32 v0, vcc, s2, v0
	v_addc_co_u32_e32 v1, vcc, v4, v1, vcc
	global_store_dwordx2 v[0:1], v[2:3], off
.LBB12_2:
	s_endpgm
	.section	.rodata,"a",@progbits
	.p2align	6, 0x0
	.amdhsa_kernel _ZN4vllm4gptq27make_sequential_2bit_kernelEPKjPjPKii
		.amdhsa_group_segment_fixed_size 0
		.amdhsa_private_segment_fixed_size 0
		.amdhsa_kernarg_size 28
		.amdhsa_user_sgpr_count 6
		.amdhsa_user_sgpr_private_segment_buffer 1
		.amdhsa_user_sgpr_dispatch_ptr 0
		.amdhsa_user_sgpr_queue_ptr 0
		.amdhsa_user_sgpr_kernarg_segment_ptr 1
		.amdhsa_user_sgpr_dispatch_id 0
		.amdhsa_user_sgpr_flat_scratch_init 0
		.amdhsa_user_sgpr_kernarg_preload_length 0
		.amdhsa_user_sgpr_kernarg_preload_offset 0
		.amdhsa_user_sgpr_private_segment_size 0
		.amdhsa_uses_dynamic_stack 0
		.amdhsa_system_sgpr_private_segment_wavefront_offset 0
		.amdhsa_system_sgpr_workgroup_id_x 1
		.amdhsa_system_sgpr_workgroup_id_y 1
		.amdhsa_system_sgpr_workgroup_id_z 0
		.amdhsa_system_sgpr_workgroup_info 0
		.amdhsa_system_vgpr_workitem_id 0
		.amdhsa_next_free_vgpr 32
		.amdhsa_next_free_sgpr 28
		.amdhsa_accum_offset 32
		.amdhsa_reserve_vcc 1
		.amdhsa_reserve_flat_scratch 0
		.amdhsa_float_round_mode_32 0
		.amdhsa_float_round_mode_16_64 0
		.amdhsa_float_denorm_mode_32 3
		.amdhsa_float_denorm_mode_16_64 3
		.amdhsa_dx10_clamp 1
		.amdhsa_ieee_mode 1
		.amdhsa_fp16_overflow 0
		.amdhsa_tg_split 0
		.amdhsa_exception_fp_ieee_invalid_op 0
		.amdhsa_exception_fp_denorm_src 0
		.amdhsa_exception_fp_ieee_div_zero 0
		.amdhsa_exception_fp_ieee_overflow 0
		.amdhsa_exception_fp_ieee_underflow 0
		.amdhsa_exception_fp_ieee_inexact 0
		.amdhsa_exception_int_div_zero 0
	.end_amdhsa_kernel
	.text
.Lfunc_end12:
	.size	_ZN4vllm4gptq27make_sequential_2bit_kernelEPKjPjPKii, .Lfunc_end12-_ZN4vllm4gptq27make_sequential_2bit_kernelEPKjPjPKii
                                        ; -- End function
	.section	.AMDGPU.csdata,"",@progbits
; Kernel info:
; codeLenInByte = 1524
; NumSgprs: 32
; NumVgprs: 32
; NumAgprs: 0
; TotalNumVgprs: 32
; ScratchSize: 0
; MemoryBound: 0
; FloatMode: 240
; IeeeMode: 1
; LDSByteSize: 0 bytes/workgroup (compile time only)
; SGPRBlocks: 3
; VGPRBlocks: 3
; NumSGPRsForWavesPerEU: 32
; NumVGPRsForWavesPerEU: 32
; AccumOffset: 32
; Occupancy: 8
; WaveLimiterHint : 0
; COMPUTE_PGM_RSRC2:SCRATCH_EN: 0
; COMPUTE_PGM_RSRC2:USER_SGPR: 6
; COMPUTE_PGM_RSRC2:TRAP_HANDLER: 0
; COMPUTE_PGM_RSRC2:TGID_X_EN: 1
; COMPUTE_PGM_RSRC2:TGID_Y_EN: 1
; COMPUTE_PGM_RSRC2:TGID_Z_EN: 0
; COMPUTE_PGM_RSRC2:TIDIG_COMP_CNT: 0
; COMPUTE_PGM_RSRC3_GFX90A:ACCUM_OFFSET: 7
; COMPUTE_PGM_RSRC3_GFX90A:TG_SPLIT: 0
	.text
	.protected	_ZN4vllm4gptq27make_sequential_3bit_kernelEPKjPjPKii ; -- Begin function _ZN4vllm4gptq27make_sequential_3bit_kernelEPKjPjPKii
	.globl	_ZN4vllm4gptq27make_sequential_3bit_kernelEPKjPjPKii
	.p2align	8
	.type	_ZN4vllm4gptq27make_sequential_3bit_kernelEPKjPjPKii,@function
_ZN4vllm4gptq27make_sequential_3bit_kernelEPKjPjPKii: ; @_ZN4vllm4gptq27make_sequential_3bit_kernelEPKjPjPKii
; %bb.0:
	s_load_dword s14, s[4:5], 0x18
	v_lshl_add_u32 v0, s6, 5, v0
	s_waitcnt lgkmcnt(0)
	v_cmp_gt_u32_e32 vcc, s14, v0
	s_and_saveexec_b64 s[0:1], vcc
	s_cbranch_execz .LBB13_801
; %bb.1:
	s_load_dwordx4 s[0:3], s[4:5], 0x0
	s_load_dwordx2 s[8:9], s[4:5], 0x10
	s_lshl_b32 s4, s7, 5
	s_mov_b32 s5, 0
	s_lshl_b64 s[4:5], s[4:5], 2
	s_waitcnt lgkmcnt(0)
	s_add_u32 s4, s8, s4
	s_addc_u32 s5, s9, s5
	s_load_dword s6, s[4:5], 0x0
	s_waitcnt lgkmcnt(0)
	s_ashr_i32 s8, s6, 31
	s_lshr_b32 s8, s8, 27
	s_add_i32 s8, s6, s8
	s_ashr_i32 s12, s8, 5
	s_andn2_b32 s8, s8, 31
	s_sub_i32 s15, s6, s8
	s_cmp_lt_i32 s15, 21
	s_mul_i32 s12, s12, 3
	s_cbranch_scc1 .LBB13_4
; %bb.2:
	s_cmp_eq_u32 s15, 21
	s_cbranch_scc0 .LBB13_5
; %bb.3:
	s_add_i32 s6, s12, 1
	s_mov_b64 s[8:9], 0
	s_branch .LBB13_6
.LBB13_4:
	s_mov_b64 s[8:9], 0
                                        ; implicit-def: $sgpr6
	s_cbranch_execnz .LBB13_7
	s_branch .LBB13_8
.LBB13_5:
	s_mov_b64 s[8:9], -1
                                        ; implicit-def: $sgpr6
.LBB13_6:
	s_branch .LBB13_8
.LBB13_7:
	s_cmp_lg_u32 s15, 10
	s_cselect_b64 s[8:9], -1, 0
	s_mov_b32 s6, s12
.LBB13_8:
	s_andn2_b64 vcc, exec, s[8:9]
                                        ; implicit-def: $sgpr16
	s_cbranch_vccnz .LBB13_15
; %bb.9:
	s_cmp_lt_i32 s15, 22
	s_mul_i32 s10, s15, 3
	s_cbranch_scc0 .LBB13_13
; %bb.10:
	s_cmp_lt_i32 s15, 11
	s_mov_b32 s16, s10
	s_mov_b32 s6, s12
	s_cbranch_scc1 .LBB13_12
; %bb.11:
	s_sub_i32 s16, s10, 32
	s_add_i32 s6, s12, 1
.LBB13_12:
	s_cbranch_execz .LBB13_14
	s_branch .LBB13_15
.LBB13_13:
                                        ; implicit-def: $sgpr16
                                        ; implicit-def: $sgpr6
.LBB13_14:
	s_sub_i32 s16, s10, 64
	s_add_i32 s6, s12, 2
.LBB13_15:
	s_mul_i32 s8, s6, s14
	v_add_u32_e32 v2, s8, v0
	v_mov_b32_e32 v3, 0
	v_lshlrev_b64 v[2:3], 2, v[2:3]
	v_mov_b32_e32 v1, s1
	v_add_co_u32_e32 v2, vcc, s0, v2
	v_addc_co_u32_e32 v3, vcc, v1, v3, vcc
	global_load_dword v4, v[2:3], off
	s_cmp_lt_i32 s15, 21
	s_mov_b64 s[8:9], 0
	s_cbranch_scc1 .LBB13_18
; %bb.16:
	s_cmp_eq_u32 s15, 21
	s_cbranch_scc0 .LBB13_19
; %bb.17:
	s_add_i32 s10, s6, 1
	s_mul_i32 s10, s10, s14
	v_add_u32_e32 v2, s10, v0
	v_mov_b32_e32 v3, 0
	v_lshlrev_b64 v[2:3], 2, v[2:3]
	v_mov_b32_e32 v1, s1
	v_add_co_u32_e32 v2, vcc, s0, v2
	v_addc_co_u32_e32 v3, vcc, v1, v3, vcc
	global_load_dword v1, v[2:3], off
	s_mov_b64 s[10:11], 0
	s_waitcnt vmcnt(0)
	v_alignbit_b32 v1, v1, v4, 31
	v_and_b32_e32 v2, 7, v1
	s_branch .LBB13_20
.LBB13_18:
                                        ; implicit-def: $vgpr2_vgpr3
	s_mov_b64 s[10:11], 0
	s_cbranch_execnz .LBB13_21
	s_branch .LBB13_22
.LBB13_19:
	s_mov_b64 s[10:11], -1
                                        ; implicit-def: $vgpr2_vgpr3
.LBB13_20:
	s_branch .LBB13_22
.LBB13_21:
	s_cmp_lg_u32 s15, 10
	s_mov_b64 s[8:9], -1
	s_cselect_b64 s[10:11], -1, 0
                                        ; implicit-def: $vgpr2_vgpr3
.LBB13_22:
	s_andn2_b64 vcc, exec, s[10:11]
	s_cbranch_vccz .LBB13_28
; %bb.23:
	s_andn2_b64 vcc, exec, s[8:9]
	s_cbranch_vccnz .LBB13_25
.LBB13_24:
	s_add_i32 s6, s6, 1
	s_mul_i32 s6, s6, s14
	v_add_u32_e32 v2, s6, v0
	v_mov_b32_e32 v3, 0
	v_lshlrev_b64 v[2:3], 2, v[2:3]
	v_mov_b32_e32 v1, s1
	v_add_co_u32_e32 v2, vcc, s0, v2
	v_addc_co_u32_e32 v3, vcc, v1, v3, vcc
	global_load_dword v1, v[2:3], off
	s_waitcnt vmcnt(0)
	v_alignbit_b32 v1, v1, v4, 30
	v_and_b32_e32 v2, 7, v1
.LBB13_25:
	s_load_dword s6, s[4:5], 0x4
	s_waitcnt lgkmcnt(0)
	s_ashr_i32 s8, s6, 31
	s_lshr_b32 s8, s8, 27
	s_add_i32 s8, s6, s8
	s_ashr_i32 s12, s8, 5
	s_andn2_b32 s8, s8, 31
	s_sub_i32 s15, s6, s8
	s_cmp_lt_i32 s15, 21
	s_mul_i32 s12, s12, 3
	s_cbranch_scc1 .LBB13_29
; %bb.26:
	s_cmp_eq_u32 s15, 21
	s_cbranch_scc0 .LBB13_30
; %bb.27:
	s_add_i32 s6, s12, 1
	s_mov_b64 s[8:9], 0
	s_mov_b32 s16, 0
	s_branch .LBB13_31
.LBB13_28:
	v_mov_b32_e32 v5, 0
	s_waitcnt vmcnt(0)
	v_lshrrev_b64 v[2:3], s16, v[4:5]
	v_and_b32_e32 v2, 7, v2
	s_cbranch_execz .LBB13_24
	s_branch .LBB13_25
.LBB13_29:
	s_mov_b64 s[8:9], 0
                                        ; implicit-def: $sgpr16
                                        ; implicit-def: $sgpr6
	s_cbranch_execnz .LBB13_32
	s_branch .LBB13_33
.LBB13_30:
	s_mov_b64 s[8:9], -1
                                        ; implicit-def: $sgpr16
                                        ; implicit-def: $sgpr6
.LBB13_31:
	s_branch .LBB13_33
.LBB13_32:
	s_cmp_lg_u32 s15, 10
	s_mov_b32 s16, 0
	s_cselect_b64 s[8:9], -1, 0
	s_mov_b32 s6, s12
.LBB13_33:
	s_andn2_b64 vcc, exec, s[8:9]
	s_cbranch_vccnz .LBB13_40
; %bb.34:
	s_cmp_gt_i32 s15, 21
	s_mul_i32 s10, s15, 3
	s_cbranch_scc1 .LBB13_38
; %bb.35:
	s_cmp_lt_i32 s15, 11
	s_mov_b32 s16, s10
	s_mov_b32 s6, s12
	s_cbranch_scc1 .LBB13_37
; %bb.36:
	s_sub_i32 s16, s10, 32
	s_add_i32 s6, s12, 1
.LBB13_37:
	s_cbranch_execz .LBB13_39
	s_branch .LBB13_40
.LBB13_38:
                                        ; implicit-def: $sgpr16
                                        ; implicit-def: $sgpr6
.LBB13_39:
	s_sub_i32 s16, s10, 64
	s_add_i32 s6, s12, 2
.LBB13_40:
	s_mul_i32 s8, s6, s14
	s_waitcnt vmcnt(0)
	v_add_u32_e32 v4, s8, v0
	v_mov_b32_e32 v5, 0
	v_lshlrev_b64 v[4:5], 2, v[4:5]
	v_mov_b32_e32 v1, s1
	v_add_co_u32_e32 v4, vcc, s0, v4
	v_addc_co_u32_e32 v5, vcc, v1, v5, vcc
	global_load_dword v6, v[4:5], off
	s_cmp_lt_i32 s15, 21
	s_mov_b64 s[8:9], 0
	s_cbranch_scc1 .LBB13_43
; %bb.41:
	s_cmp_eq_u32 s15, 21
	s_cbranch_scc0 .LBB13_44
; %bb.42:
	s_add_i32 s10, s6, 1
	s_mul_i32 s10, s10, s14
	v_add_u32_e32 v4, s10, v0
	v_mov_b32_e32 v5, 0
	v_lshlrev_b64 v[4:5], 2, v[4:5]
	v_mov_b32_e32 v1, s1
	v_add_co_u32_e32 v4, vcc, s0, v4
	v_addc_co_u32_e32 v5, vcc, v1, v5, vcc
	global_load_dword v1, v[4:5], off
	s_mov_b64 s[10:11], 0
	s_waitcnt vmcnt(0)
	v_alignbit_b32 v1, v1, v6, 31
	v_and_b32_e32 v4, 7, v1
	s_branch .LBB13_45
.LBB13_43:
                                        ; implicit-def: $vgpr4_vgpr5
	s_mov_b64 s[10:11], 0
	s_cbranch_execnz .LBB13_46
	s_branch .LBB13_47
.LBB13_44:
	s_mov_b64 s[10:11], -1
                                        ; implicit-def: $vgpr4_vgpr5
.LBB13_45:
	s_branch .LBB13_47
.LBB13_46:
	s_cmp_lg_u32 s15, 10
	s_mov_b64 s[8:9], -1
	s_cselect_b64 s[10:11], -1, 0
                                        ; implicit-def: $vgpr4_vgpr5
.LBB13_47:
	s_andn2_b64 vcc, exec, s[10:11]
	s_cbranch_vccz .LBB13_53
; %bb.48:
	s_andn2_b64 vcc, exec, s[8:9]
	s_cbranch_vccnz .LBB13_50
.LBB13_49:
	s_add_i32 s6, s6, 1
	s_mul_i32 s6, s6, s14
	v_add_u32_e32 v4, s6, v0
	v_mov_b32_e32 v5, 0
	v_lshlrev_b64 v[4:5], 2, v[4:5]
	v_mov_b32_e32 v1, s1
	v_add_co_u32_e32 v4, vcc, s0, v4
	v_addc_co_u32_e32 v5, vcc, v1, v5, vcc
	global_load_dword v1, v[4:5], off
	s_waitcnt vmcnt(0)
	v_alignbit_b32 v1, v1, v6, 30
	v_and_b32_e32 v4, 7, v1
.LBB13_50:
	s_load_dword s6, s[4:5], 0x8
	s_waitcnt lgkmcnt(0)
	s_ashr_i32 s8, s6, 31
	s_lshr_b32 s8, s8, 27
	s_add_i32 s8, s6, s8
	s_ashr_i32 s12, s8, 5
	s_andn2_b32 s8, s8, 31
	s_sub_i32 s15, s6, s8
	s_cmp_lt_i32 s15, 21
	s_mul_i32 s12, s12, 3
	s_cbranch_scc1 .LBB13_54
; %bb.51:
	s_cmp_eq_u32 s15, 21
	s_cbranch_scc0 .LBB13_55
; %bb.52:
	s_add_i32 s6, s12, 1
	s_mov_b64 s[8:9], 0
	s_mov_b32 s16, 3
	s_branch .LBB13_56
.LBB13_53:
	v_mov_b32_e32 v7, 0
	s_waitcnt vmcnt(0)
	v_lshrrev_b64 v[4:5], s16, v[6:7]
	v_and_b32_e32 v4, 7, v4
	s_cbranch_execz .LBB13_49
	s_branch .LBB13_50
.LBB13_54:
	s_mov_b64 s[8:9], 0
                                        ; implicit-def: $sgpr16
                                        ; implicit-def: $sgpr6
	s_cbranch_execnz .LBB13_57
	s_branch .LBB13_58
.LBB13_55:
	s_mov_b64 s[8:9], -1
                                        ; implicit-def: $sgpr16
                                        ; implicit-def: $sgpr6
.LBB13_56:
	s_branch .LBB13_58
.LBB13_57:
	s_cmp_lg_u32 s15, 10
	s_mov_b32 s16, 3
	s_cselect_b64 s[8:9], -1, 0
	s_mov_b32 s6, s12
.LBB13_58:
	s_andn2_b64 vcc, exec, s[8:9]
	s_cbranch_vccnz .LBB13_65
; %bb.59:
	s_cmp_gt_i32 s15, 21
	s_mul_i32 s10, s15, 3
	s_cbranch_scc1 .LBB13_63
; %bb.60:
	s_cmp_lt_i32 s15, 11
	s_mov_b32 s16, s10
	s_mov_b32 s6, s12
	s_cbranch_scc1 .LBB13_62
; %bb.61:
	s_sub_i32 s16, s10, 32
	s_add_i32 s6, s12, 1
.LBB13_62:
	s_cbranch_execz .LBB13_64
	s_branch .LBB13_65
.LBB13_63:
                                        ; implicit-def: $sgpr16
                                        ; implicit-def: $sgpr6
.LBB13_64:
	s_sub_i32 s16, s10, 64
	s_add_i32 s6, s12, 2
.LBB13_65:
	s_mul_i32 s8, s6, s14
	s_waitcnt vmcnt(0)
	v_add_u32_e32 v6, s8, v0
	v_mov_b32_e32 v7, 0
	v_lshlrev_b64 v[6:7], 2, v[6:7]
	v_mov_b32_e32 v1, s1
	v_add_co_u32_e32 v6, vcc, s0, v6
	v_addc_co_u32_e32 v7, vcc, v1, v7, vcc
	global_load_dword v8, v[6:7], off
	s_cmp_lt_i32 s15, 21
	s_mov_b64 s[8:9], 0
	s_cbranch_scc1 .LBB13_68
; %bb.66:
	s_cmp_eq_u32 s15, 21
	s_cbranch_scc0 .LBB13_69
; %bb.67:
	s_add_i32 s10, s6, 1
	s_mul_i32 s10, s10, s14
	v_add_u32_e32 v6, s10, v0
	v_mov_b32_e32 v7, 0
	v_lshlrev_b64 v[6:7], 2, v[6:7]
	v_mov_b32_e32 v1, s1
	v_add_co_u32_e32 v6, vcc, s0, v6
	v_addc_co_u32_e32 v7, vcc, v1, v7, vcc
	global_load_dword v1, v[6:7], off
	s_mov_b64 s[10:11], 0
	s_waitcnt vmcnt(0)
	v_alignbit_b32 v1, v1, v8, 31
	v_and_b32_e32 v6, 7, v1
	s_branch .LBB13_70
.LBB13_68:
                                        ; implicit-def: $vgpr6_vgpr7
	s_mov_b64 s[10:11], 0
	s_cbranch_execnz .LBB13_71
	s_branch .LBB13_72
.LBB13_69:
	s_mov_b64 s[10:11], -1
                                        ; implicit-def: $vgpr6_vgpr7
.LBB13_70:
	s_branch .LBB13_72
.LBB13_71:
	s_cmp_lg_u32 s15, 10
	s_mov_b64 s[8:9], -1
	s_cselect_b64 s[10:11], -1, 0
                                        ; implicit-def: $vgpr6_vgpr7
.LBB13_72:
	s_andn2_b64 vcc, exec, s[10:11]
	s_cbranch_vccz .LBB13_78
; %bb.73:
	s_andn2_b64 vcc, exec, s[8:9]
	s_cbranch_vccnz .LBB13_75
.LBB13_74:
	s_add_i32 s6, s6, 1
	s_mul_i32 s6, s6, s14
	v_add_u32_e32 v6, s6, v0
	v_mov_b32_e32 v7, 0
	v_lshlrev_b64 v[6:7], 2, v[6:7]
	v_mov_b32_e32 v1, s1
	v_add_co_u32_e32 v6, vcc, s0, v6
	v_addc_co_u32_e32 v7, vcc, v1, v7, vcc
	global_load_dword v1, v[6:7], off
	s_waitcnt vmcnt(0)
	v_alignbit_b32 v1, v1, v8, 30
	v_and_b32_e32 v6, 7, v1
.LBB13_75:
	s_load_dword s6, s[4:5], 0xc
	s_waitcnt lgkmcnt(0)
	s_ashr_i32 s8, s6, 31
	s_lshr_b32 s8, s8, 27
	s_add_i32 s8, s6, s8
	s_ashr_i32 s12, s8, 5
	s_andn2_b32 s8, s8, 31
	s_sub_i32 s15, s6, s8
	s_cmp_lt_i32 s15, 21
	s_mul_i32 s12, s12, 3
	s_cbranch_scc1 .LBB13_79
; %bb.76:
	s_cmp_eq_u32 s15, 21
	s_cbranch_scc0 .LBB13_80
; %bb.77:
	s_add_i32 s6, s12, 1
	s_mov_b64 s[8:9], 0
	s_mov_b32 s16, 6
	s_branch .LBB13_81
.LBB13_78:
	v_mov_b32_e32 v9, 0
	s_waitcnt vmcnt(0)
	v_lshrrev_b64 v[6:7], s16, v[8:9]
	v_and_b32_e32 v6, 7, v6
	s_cbranch_execz .LBB13_74
	s_branch .LBB13_75
.LBB13_79:
	s_mov_b64 s[8:9], 0
                                        ; implicit-def: $sgpr16
                                        ; implicit-def: $sgpr6
	s_cbranch_execnz .LBB13_82
	s_branch .LBB13_83
.LBB13_80:
	s_mov_b64 s[8:9], -1
                                        ; implicit-def: $sgpr16
                                        ; implicit-def: $sgpr6
.LBB13_81:
	s_branch .LBB13_83
.LBB13_82:
	s_cmp_lg_u32 s15, 10
	s_mov_b32 s16, 6
	s_cselect_b64 s[8:9], -1, 0
	s_mov_b32 s6, s12
.LBB13_83:
	s_andn2_b64 vcc, exec, s[8:9]
	s_cbranch_vccnz .LBB13_90
; %bb.84:
	s_cmp_gt_i32 s15, 21
	s_mul_i32 s10, s15, 3
	s_cbranch_scc1 .LBB13_88
; %bb.85:
	s_cmp_lt_i32 s15, 11
	s_mov_b32 s16, s10
	s_mov_b32 s6, s12
	s_cbranch_scc1 .LBB13_87
; %bb.86:
	s_sub_i32 s16, s10, 32
	s_add_i32 s6, s12, 1
.LBB13_87:
	s_cbranch_execz .LBB13_89
	s_branch .LBB13_90
.LBB13_88:
                                        ; implicit-def: $sgpr16
                                        ; implicit-def: $sgpr6
.LBB13_89:
	s_sub_i32 s16, s10, 64
	s_add_i32 s6, s12, 2
.LBB13_90:
	s_mul_i32 s8, s6, s14
	s_waitcnt vmcnt(0)
	v_add_u32_e32 v8, s8, v0
	v_mov_b32_e32 v9, 0
	v_lshlrev_b64 v[8:9], 2, v[8:9]
	v_mov_b32_e32 v1, s1
	v_add_co_u32_e32 v8, vcc, s0, v8
	v_addc_co_u32_e32 v9, vcc, v1, v9, vcc
	global_load_dword v10, v[8:9], off
	s_cmp_lt_i32 s15, 21
	s_mov_b64 s[8:9], 0
	s_cbranch_scc1 .LBB13_93
; %bb.91:
	s_cmp_eq_u32 s15, 21
	s_cbranch_scc0 .LBB13_94
; %bb.92:
	s_add_i32 s10, s6, 1
	s_mul_i32 s10, s10, s14
	v_add_u32_e32 v8, s10, v0
	v_mov_b32_e32 v9, 0
	v_lshlrev_b64 v[8:9], 2, v[8:9]
	v_mov_b32_e32 v1, s1
	v_add_co_u32_e32 v8, vcc, s0, v8
	v_addc_co_u32_e32 v9, vcc, v1, v9, vcc
	global_load_dword v1, v[8:9], off
	s_mov_b64 s[10:11], 0
	s_waitcnt vmcnt(0)
	v_alignbit_b32 v1, v1, v10, 31
	v_and_b32_e32 v8, 7, v1
	s_branch .LBB13_95
.LBB13_93:
                                        ; implicit-def: $vgpr8_vgpr9
	s_mov_b64 s[10:11], 0
	s_cbranch_execnz .LBB13_96
	s_branch .LBB13_97
.LBB13_94:
	s_mov_b64 s[10:11], -1
                                        ; implicit-def: $vgpr8_vgpr9
.LBB13_95:
	s_branch .LBB13_97
.LBB13_96:
	s_cmp_lg_u32 s15, 10
	s_mov_b64 s[8:9], -1
	s_cselect_b64 s[10:11], -1, 0
                                        ; implicit-def: $vgpr8_vgpr9
.LBB13_97:
	s_andn2_b64 vcc, exec, s[10:11]
	s_cbranch_vccz .LBB13_103
; %bb.98:
	s_andn2_b64 vcc, exec, s[8:9]
	s_cbranch_vccnz .LBB13_100
.LBB13_99:
	s_add_i32 s6, s6, 1
	s_mul_i32 s6, s6, s14
	v_add_u32_e32 v8, s6, v0
	v_mov_b32_e32 v9, 0
	v_lshlrev_b64 v[8:9], 2, v[8:9]
	v_mov_b32_e32 v1, s1
	v_add_co_u32_e32 v8, vcc, s0, v8
	v_addc_co_u32_e32 v9, vcc, v1, v9, vcc
	global_load_dword v1, v[8:9], off
	s_waitcnt vmcnt(0)
	v_alignbit_b32 v1, v1, v10, 30
	v_and_b32_e32 v8, 7, v1
.LBB13_100:
	s_load_dword s6, s[4:5], 0x10
	s_waitcnt lgkmcnt(0)
	s_ashr_i32 s8, s6, 31
	s_lshr_b32 s8, s8, 27
	s_add_i32 s8, s6, s8
	s_ashr_i32 s12, s8, 5
	s_andn2_b32 s8, s8, 31
	s_sub_i32 s15, s6, s8
	s_cmp_lt_i32 s15, 21
	s_mul_i32 s12, s12, 3
	s_cbranch_scc1 .LBB13_104
; %bb.101:
	s_cmp_eq_u32 s15, 21
	s_cbranch_scc0 .LBB13_105
; %bb.102:
	s_add_i32 s6, s12, 1
	s_mov_b64 s[8:9], 0
	s_mov_b32 s16, 9
	s_branch .LBB13_106
.LBB13_103:
	v_mov_b32_e32 v11, 0
	s_waitcnt vmcnt(0)
	v_lshrrev_b64 v[8:9], s16, v[10:11]
	v_and_b32_e32 v8, 7, v8
	s_cbranch_execz .LBB13_99
	s_branch .LBB13_100
.LBB13_104:
	s_mov_b64 s[8:9], 0
                                        ; implicit-def: $sgpr16
                                        ; implicit-def: $sgpr6
	s_cbranch_execnz .LBB13_107
	s_branch .LBB13_108
.LBB13_105:
	s_mov_b64 s[8:9], -1
                                        ; implicit-def: $sgpr16
                                        ; implicit-def: $sgpr6
.LBB13_106:
	s_branch .LBB13_108
.LBB13_107:
	s_cmp_lg_u32 s15, 10
	s_mov_b32 s16, 9
	s_cselect_b64 s[8:9], -1, 0
	s_mov_b32 s6, s12
.LBB13_108:
	s_andn2_b64 vcc, exec, s[8:9]
	s_cbranch_vccnz .LBB13_115
; %bb.109:
	s_cmp_gt_i32 s15, 21
	s_mul_i32 s10, s15, 3
	s_cbranch_scc1 .LBB13_113
; %bb.110:
	s_cmp_lt_i32 s15, 11
	s_mov_b32 s16, s10
	s_mov_b32 s6, s12
	s_cbranch_scc1 .LBB13_112
; %bb.111:
	s_sub_i32 s16, s10, 32
	s_add_i32 s6, s12, 1
.LBB13_112:
	s_cbranch_execz .LBB13_114
	s_branch .LBB13_115
.LBB13_113:
                                        ; implicit-def: $sgpr16
                                        ; implicit-def: $sgpr6
.LBB13_114:
	s_sub_i32 s16, s10, 64
	s_add_i32 s6, s12, 2
.LBB13_115:
	s_mul_i32 s8, s6, s14
	s_waitcnt vmcnt(0)
	v_add_u32_e32 v10, s8, v0
	v_mov_b32_e32 v11, 0
	v_lshlrev_b64 v[10:11], 2, v[10:11]
	v_mov_b32_e32 v1, s1
	v_add_co_u32_e32 v10, vcc, s0, v10
	v_addc_co_u32_e32 v11, vcc, v1, v11, vcc
	global_load_dword v12, v[10:11], off
	s_cmp_lt_i32 s15, 21
	s_mov_b64 s[8:9], 0
	s_cbranch_scc1 .LBB13_118
; %bb.116:
	s_cmp_eq_u32 s15, 21
	s_cbranch_scc0 .LBB13_119
; %bb.117:
	s_add_i32 s10, s6, 1
	s_mul_i32 s10, s10, s14
	v_add_u32_e32 v10, s10, v0
	v_mov_b32_e32 v11, 0
	v_lshlrev_b64 v[10:11], 2, v[10:11]
	v_mov_b32_e32 v1, s1
	v_add_co_u32_e32 v10, vcc, s0, v10
	v_addc_co_u32_e32 v11, vcc, v1, v11, vcc
	global_load_dword v1, v[10:11], off
	s_mov_b64 s[10:11], 0
	s_waitcnt vmcnt(0)
	v_alignbit_b32 v1, v1, v12, 31
	v_and_b32_e32 v10, 7, v1
	s_branch .LBB13_120
.LBB13_118:
                                        ; implicit-def: $vgpr10_vgpr11
	s_mov_b64 s[10:11], 0
	s_cbranch_execnz .LBB13_121
	s_branch .LBB13_122
.LBB13_119:
	s_mov_b64 s[10:11], -1
                                        ; implicit-def: $vgpr10_vgpr11
.LBB13_120:
	s_branch .LBB13_122
.LBB13_121:
	s_cmp_lg_u32 s15, 10
	s_mov_b64 s[8:9], -1
	s_cselect_b64 s[10:11], -1, 0
                                        ; implicit-def: $vgpr10_vgpr11
.LBB13_122:
	s_andn2_b64 vcc, exec, s[10:11]
	s_cbranch_vccz .LBB13_128
; %bb.123:
	s_andn2_b64 vcc, exec, s[8:9]
	s_cbranch_vccnz .LBB13_125
.LBB13_124:
	s_add_i32 s6, s6, 1
	s_mul_i32 s6, s6, s14
	v_add_u32_e32 v10, s6, v0
	v_mov_b32_e32 v11, 0
	v_lshlrev_b64 v[10:11], 2, v[10:11]
	v_mov_b32_e32 v1, s1
	v_add_co_u32_e32 v10, vcc, s0, v10
	v_addc_co_u32_e32 v11, vcc, v1, v11, vcc
	global_load_dword v1, v[10:11], off
	s_waitcnt vmcnt(0)
	v_alignbit_b32 v1, v1, v12, 30
	v_and_b32_e32 v10, 7, v1
.LBB13_125:
	s_load_dword s6, s[4:5], 0x14
	s_waitcnt lgkmcnt(0)
	s_ashr_i32 s8, s6, 31
	s_lshr_b32 s8, s8, 27
	s_add_i32 s8, s6, s8
	s_ashr_i32 s12, s8, 5
	s_andn2_b32 s8, s8, 31
	s_sub_i32 s15, s6, s8
	s_cmp_lt_i32 s15, 21
	s_mul_i32 s12, s12, 3
	s_cbranch_scc1 .LBB13_129
; %bb.126:
	s_cmp_eq_u32 s15, 21
	s_cbranch_scc0 .LBB13_130
; %bb.127:
	s_add_i32 s6, s12, 1
	s_mov_b64 s[8:9], 0
	s_mov_b32 s16, 12
	s_branch .LBB13_131
.LBB13_128:
	v_mov_b32_e32 v13, 0
	s_waitcnt vmcnt(0)
	v_lshrrev_b64 v[10:11], s16, v[12:13]
	v_and_b32_e32 v10, 7, v10
	s_cbranch_execz .LBB13_124
	s_branch .LBB13_125
.LBB13_129:
	s_mov_b64 s[8:9], 0
                                        ; implicit-def: $sgpr16
                                        ; implicit-def: $sgpr6
	s_cbranch_execnz .LBB13_132
	s_branch .LBB13_133
.LBB13_130:
	s_mov_b64 s[8:9], -1
                                        ; implicit-def: $sgpr16
                                        ; implicit-def: $sgpr6
.LBB13_131:
	s_branch .LBB13_133
.LBB13_132:
	s_cmp_lg_u32 s15, 10
	s_mov_b32 s16, 12
	s_cselect_b64 s[8:9], -1, 0
	s_mov_b32 s6, s12
.LBB13_133:
	s_andn2_b64 vcc, exec, s[8:9]
	s_cbranch_vccnz .LBB13_140
; %bb.134:
	s_cmp_gt_i32 s15, 21
	s_mul_i32 s10, s15, 3
	s_cbranch_scc1 .LBB13_138
; %bb.135:
	s_cmp_lt_i32 s15, 11
	s_mov_b32 s16, s10
	s_mov_b32 s6, s12
	s_cbranch_scc1 .LBB13_137
; %bb.136:
	s_sub_i32 s16, s10, 32
	s_add_i32 s6, s12, 1
.LBB13_137:
	s_cbranch_execz .LBB13_139
	s_branch .LBB13_140
.LBB13_138:
                                        ; implicit-def: $sgpr16
                                        ; implicit-def: $sgpr6
.LBB13_139:
	s_sub_i32 s16, s10, 64
	s_add_i32 s6, s12, 2
.LBB13_140:
	s_mul_i32 s8, s6, s14
	s_waitcnt vmcnt(0)
	v_add_u32_e32 v12, s8, v0
	v_mov_b32_e32 v13, 0
	v_lshlrev_b64 v[12:13], 2, v[12:13]
	v_mov_b32_e32 v1, s1
	v_add_co_u32_e32 v12, vcc, s0, v12
	v_addc_co_u32_e32 v13, vcc, v1, v13, vcc
	global_load_dword v14, v[12:13], off
	s_cmp_lt_i32 s15, 21
	s_mov_b64 s[8:9], 0
	s_cbranch_scc1 .LBB13_143
; %bb.141:
	s_cmp_eq_u32 s15, 21
	s_cbranch_scc0 .LBB13_144
; %bb.142:
	s_add_i32 s10, s6, 1
	s_mul_i32 s10, s10, s14
	v_add_u32_e32 v12, s10, v0
	v_mov_b32_e32 v13, 0
	v_lshlrev_b64 v[12:13], 2, v[12:13]
	v_mov_b32_e32 v1, s1
	v_add_co_u32_e32 v12, vcc, s0, v12
	v_addc_co_u32_e32 v13, vcc, v1, v13, vcc
	global_load_dword v1, v[12:13], off
	s_mov_b64 s[10:11], 0
	s_waitcnt vmcnt(0)
	v_alignbit_b32 v1, v1, v14, 31
	v_and_b32_e32 v12, 7, v1
	s_branch .LBB13_145
.LBB13_143:
                                        ; implicit-def: $vgpr12_vgpr13
	s_mov_b64 s[10:11], 0
	s_cbranch_execnz .LBB13_146
	s_branch .LBB13_147
.LBB13_144:
	s_mov_b64 s[10:11], -1
                                        ; implicit-def: $vgpr12_vgpr13
.LBB13_145:
	s_branch .LBB13_147
.LBB13_146:
	s_cmp_lg_u32 s15, 10
	s_mov_b64 s[8:9], -1
	s_cselect_b64 s[10:11], -1, 0
                                        ; implicit-def: $vgpr12_vgpr13
.LBB13_147:
	s_andn2_b64 vcc, exec, s[10:11]
	s_cbranch_vccz .LBB13_153
; %bb.148:
	s_andn2_b64 vcc, exec, s[8:9]
	s_cbranch_vccnz .LBB13_150
.LBB13_149:
	s_add_i32 s6, s6, 1
	s_mul_i32 s6, s6, s14
	v_add_u32_e32 v12, s6, v0
	v_mov_b32_e32 v13, 0
	v_lshlrev_b64 v[12:13], 2, v[12:13]
	v_mov_b32_e32 v1, s1
	v_add_co_u32_e32 v12, vcc, s0, v12
	v_addc_co_u32_e32 v13, vcc, v1, v13, vcc
	global_load_dword v1, v[12:13], off
	s_waitcnt vmcnt(0)
	v_alignbit_b32 v1, v1, v14, 30
	v_and_b32_e32 v12, 7, v1
.LBB13_150:
	s_load_dword s6, s[4:5], 0x18
	s_waitcnt lgkmcnt(0)
	s_ashr_i32 s8, s6, 31
	s_lshr_b32 s8, s8, 27
	s_add_i32 s8, s6, s8
	s_ashr_i32 s12, s8, 5
	s_andn2_b32 s8, s8, 31
	s_sub_i32 s15, s6, s8
	s_cmp_lt_i32 s15, 21
	s_mul_i32 s12, s12, 3
	s_cbranch_scc1 .LBB13_154
; %bb.151:
	s_cmp_eq_u32 s15, 21
	s_cbranch_scc0 .LBB13_155
; %bb.152:
	s_add_i32 s6, s12, 1
	s_mov_b64 s[8:9], 0
	s_mov_b32 s16, 15
	s_branch .LBB13_156
.LBB13_153:
	v_mov_b32_e32 v15, 0
	s_waitcnt vmcnt(0)
	v_lshrrev_b64 v[12:13], s16, v[14:15]
	v_and_b32_e32 v12, 7, v12
	s_cbranch_execz .LBB13_149
	s_branch .LBB13_150
.LBB13_154:
	s_mov_b64 s[8:9], 0
                                        ; implicit-def: $sgpr16
                                        ; implicit-def: $sgpr6
	s_cbranch_execnz .LBB13_157
	s_branch .LBB13_158
.LBB13_155:
	s_mov_b64 s[8:9], -1
                                        ; implicit-def: $sgpr16
                                        ; implicit-def: $sgpr6
.LBB13_156:
	s_branch .LBB13_158
.LBB13_157:
	s_cmp_lg_u32 s15, 10
	s_mov_b32 s16, 15
	s_cselect_b64 s[8:9], -1, 0
	s_mov_b32 s6, s12
.LBB13_158:
	s_andn2_b64 vcc, exec, s[8:9]
	s_cbranch_vccnz .LBB13_165
; %bb.159:
	s_cmp_gt_i32 s15, 21
	s_mul_i32 s10, s15, 3
	s_cbranch_scc1 .LBB13_163
; %bb.160:
	s_cmp_lt_i32 s15, 11
	s_mov_b32 s16, s10
	s_mov_b32 s6, s12
	s_cbranch_scc1 .LBB13_162
; %bb.161:
	s_sub_i32 s16, s10, 32
	s_add_i32 s6, s12, 1
.LBB13_162:
	s_cbranch_execz .LBB13_164
	s_branch .LBB13_165
.LBB13_163:
                                        ; implicit-def: $sgpr16
                                        ; implicit-def: $sgpr6
.LBB13_164:
	s_sub_i32 s16, s10, 64
	s_add_i32 s6, s12, 2
.LBB13_165:
	s_mul_i32 s8, s6, s14
	s_waitcnt vmcnt(0)
	v_add_u32_e32 v14, s8, v0
	v_mov_b32_e32 v15, 0
	v_lshlrev_b64 v[14:15], 2, v[14:15]
	v_mov_b32_e32 v1, s1
	v_add_co_u32_e32 v14, vcc, s0, v14
	v_addc_co_u32_e32 v15, vcc, v1, v15, vcc
	global_load_dword v16, v[14:15], off
	s_cmp_lt_i32 s15, 21
	s_mov_b64 s[8:9], 0
	s_cbranch_scc1 .LBB13_168
; %bb.166:
	s_cmp_eq_u32 s15, 21
	s_cbranch_scc0 .LBB13_169
; %bb.167:
	s_add_i32 s10, s6, 1
	s_mul_i32 s10, s10, s14
	v_add_u32_e32 v14, s10, v0
	v_mov_b32_e32 v15, 0
	v_lshlrev_b64 v[14:15], 2, v[14:15]
	v_mov_b32_e32 v1, s1
	v_add_co_u32_e32 v14, vcc, s0, v14
	v_addc_co_u32_e32 v15, vcc, v1, v15, vcc
	global_load_dword v1, v[14:15], off
	s_mov_b64 s[10:11], 0
	s_waitcnt vmcnt(0)
	v_alignbit_b32 v1, v1, v16, 31
	v_and_b32_e32 v14, 7, v1
	s_branch .LBB13_170
.LBB13_168:
                                        ; implicit-def: $vgpr14_vgpr15
	s_mov_b64 s[10:11], 0
	s_cbranch_execnz .LBB13_171
	s_branch .LBB13_172
.LBB13_169:
	s_mov_b64 s[10:11], -1
                                        ; implicit-def: $vgpr14_vgpr15
.LBB13_170:
	s_branch .LBB13_172
.LBB13_171:
	s_cmp_lg_u32 s15, 10
	s_mov_b64 s[8:9], -1
	s_cselect_b64 s[10:11], -1, 0
                                        ; implicit-def: $vgpr14_vgpr15
.LBB13_172:
	s_andn2_b64 vcc, exec, s[10:11]
	s_cbranch_vccz .LBB13_178
; %bb.173:
	s_andn2_b64 vcc, exec, s[8:9]
	s_cbranch_vccnz .LBB13_175
.LBB13_174:
	s_add_i32 s6, s6, 1
	s_mul_i32 s6, s6, s14
	v_add_u32_e32 v14, s6, v0
	v_mov_b32_e32 v15, 0
	v_lshlrev_b64 v[14:15], 2, v[14:15]
	v_mov_b32_e32 v1, s1
	v_add_co_u32_e32 v14, vcc, s0, v14
	v_addc_co_u32_e32 v15, vcc, v1, v15, vcc
	global_load_dword v1, v[14:15], off
	s_waitcnt vmcnt(0)
	v_alignbit_b32 v1, v1, v16, 30
	v_and_b32_e32 v14, 7, v1
.LBB13_175:
	s_load_dword s6, s[4:5], 0x1c
	s_waitcnt lgkmcnt(0)
	s_ashr_i32 s8, s6, 31
	s_lshr_b32 s8, s8, 27
	s_add_i32 s8, s6, s8
	s_ashr_i32 s12, s8, 5
	s_andn2_b32 s8, s8, 31
	s_sub_i32 s15, s6, s8
	s_cmp_lt_i32 s15, 21
	s_mul_i32 s12, s12, 3
	s_cbranch_scc1 .LBB13_179
; %bb.176:
	s_cmp_eq_u32 s15, 21
	s_cbranch_scc0 .LBB13_180
; %bb.177:
	s_add_i32 s6, s12, 1
	s_mov_b64 s[8:9], 0
	s_mov_b32 s16, 18
	s_branch .LBB13_181
.LBB13_178:
	v_mov_b32_e32 v17, 0
	s_waitcnt vmcnt(0)
	v_lshrrev_b64 v[14:15], s16, v[16:17]
	v_and_b32_e32 v14, 7, v14
	s_cbranch_execz .LBB13_174
	s_branch .LBB13_175
.LBB13_179:
	s_mov_b64 s[8:9], 0
                                        ; implicit-def: $sgpr16
                                        ; implicit-def: $sgpr6
	s_cbranch_execnz .LBB13_182
	s_branch .LBB13_183
.LBB13_180:
	s_mov_b64 s[8:9], -1
                                        ; implicit-def: $sgpr16
                                        ; implicit-def: $sgpr6
.LBB13_181:
	s_branch .LBB13_183
.LBB13_182:
	s_cmp_lg_u32 s15, 10
	s_mov_b32 s16, 18
	s_cselect_b64 s[8:9], -1, 0
	s_mov_b32 s6, s12
.LBB13_183:
	s_andn2_b64 vcc, exec, s[8:9]
	s_cbranch_vccnz .LBB13_190
; %bb.184:
	s_cmp_gt_i32 s15, 21
	s_mul_i32 s10, s15, 3
	s_cbranch_scc1 .LBB13_188
; %bb.185:
	s_cmp_lt_i32 s15, 11
	s_mov_b32 s16, s10
	s_mov_b32 s6, s12
	s_cbranch_scc1 .LBB13_187
; %bb.186:
	s_sub_i32 s16, s10, 32
	s_add_i32 s6, s12, 1
.LBB13_187:
	s_cbranch_execz .LBB13_189
	s_branch .LBB13_190
.LBB13_188:
                                        ; implicit-def: $sgpr16
                                        ; implicit-def: $sgpr6
.LBB13_189:
	s_sub_i32 s16, s10, 64
	s_add_i32 s6, s12, 2
.LBB13_190:
	s_mul_i32 s8, s6, s14
	s_waitcnt vmcnt(0)
	v_add_u32_e32 v16, s8, v0
	v_mov_b32_e32 v17, 0
	v_lshlrev_b64 v[16:17], 2, v[16:17]
	v_mov_b32_e32 v1, s1
	v_add_co_u32_e32 v16, vcc, s0, v16
	v_addc_co_u32_e32 v17, vcc, v1, v17, vcc
	global_load_dword v18, v[16:17], off
	s_cmp_lt_i32 s15, 21
	s_mov_b64 s[8:9], 0
	s_cbranch_scc1 .LBB13_193
; %bb.191:
	s_cmp_eq_u32 s15, 21
	s_cbranch_scc0 .LBB13_194
; %bb.192:
	s_add_i32 s10, s6, 1
	s_mul_i32 s10, s10, s14
	v_add_u32_e32 v16, s10, v0
	v_mov_b32_e32 v17, 0
	v_lshlrev_b64 v[16:17], 2, v[16:17]
	v_mov_b32_e32 v1, s1
	v_add_co_u32_e32 v16, vcc, s0, v16
	v_addc_co_u32_e32 v17, vcc, v1, v17, vcc
	global_load_dword v1, v[16:17], off
	s_mov_b64 s[10:11], 0
	s_waitcnt vmcnt(0)
	v_alignbit_b32 v1, v1, v18, 31
	v_and_b32_e32 v16, 7, v1
	s_branch .LBB13_195
.LBB13_193:
                                        ; implicit-def: $vgpr16_vgpr17
	s_mov_b64 s[10:11], 0
	s_cbranch_execnz .LBB13_196
	s_branch .LBB13_197
.LBB13_194:
	s_mov_b64 s[10:11], -1
                                        ; implicit-def: $vgpr16_vgpr17
.LBB13_195:
	s_branch .LBB13_197
.LBB13_196:
	s_cmp_lg_u32 s15, 10
	s_mov_b64 s[8:9], -1
	s_cselect_b64 s[10:11], -1, 0
                                        ; implicit-def: $vgpr16_vgpr17
.LBB13_197:
	s_andn2_b64 vcc, exec, s[10:11]
	s_cbranch_vccz .LBB13_203
; %bb.198:
	s_andn2_b64 vcc, exec, s[8:9]
	s_cbranch_vccnz .LBB13_200
.LBB13_199:
	s_add_i32 s6, s6, 1
	s_mul_i32 s6, s6, s14
	v_add_u32_e32 v16, s6, v0
	v_mov_b32_e32 v17, 0
	v_lshlrev_b64 v[16:17], 2, v[16:17]
	v_mov_b32_e32 v1, s1
	v_add_co_u32_e32 v16, vcc, s0, v16
	v_addc_co_u32_e32 v17, vcc, v1, v17, vcc
	global_load_dword v1, v[16:17], off
	s_waitcnt vmcnt(0)
	v_alignbit_b32 v1, v1, v18, 30
	v_and_b32_e32 v16, 7, v1
.LBB13_200:
	s_load_dword s6, s[4:5], 0x20
	s_waitcnt lgkmcnt(0)
	s_ashr_i32 s8, s6, 31
	s_lshr_b32 s8, s8, 27
	s_add_i32 s8, s6, s8
	s_ashr_i32 s12, s8, 5
	s_andn2_b32 s8, s8, 31
	s_sub_i32 s15, s6, s8
	s_cmp_lt_i32 s15, 21
	s_mul_i32 s12, s12, 3
	s_cbranch_scc1 .LBB13_204
; %bb.201:
	s_cmp_eq_u32 s15, 21
	s_cbranch_scc0 .LBB13_205
; %bb.202:
	s_add_i32 s6, s12, 1
	s_mov_b64 s[8:9], 0
	s_mov_b32 s16, 21
	s_branch .LBB13_206
.LBB13_203:
	v_mov_b32_e32 v19, 0
	s_waitcnt vmcnt(0)
	v_lshrrev_b64 v[16:17], s16, v[18:19]
	v_and_b32_e32 v16, 7, v16
	s_cbranch_execz .LBB13_199
	s_branch .LBB13_200
.LBB13_204:
	s_mov_b64 s[8:9], 0
                                        ; implicit-def: $sgpr16
                                        ; implicit-def: $sgpr6
	s_cbranch_execnz .LBB13_207
	s_branch .LBB13_208
.LBB13_205:
	s_mov_b64 s[8:9], -1
                                        ; implicit-def: $sgpr16
                                        ; implicit-def: $sgpr6
.LBB13_206:
	s_branch .LBB13_208
.LBB13_207:
	s_cmp_lg_u32 s15, 10
	s_mov_b32 s16, 21
	s_cselect_b64 s[8:9], -1, 0
	s_mov_b32 s6, s12
.LBB13_208:
	s_andn2_b64 vcc, exec, s[8:9]
	s_cbranch_vccnz .LBB13_215
; %bb.209:
	s_cmp_gt_i32 s15, 21
	s_mul_i32 s10, s15, 3
	s_cbranch_scc1 .LBB13_213
; %bb.210:
	s_cmp_lt_i32 s15, 11
	s_mov_b32 s16, s10
	s_mov_b32 s6, s12
	s_cbranch_scc1 .LBB13_212
; %bb.211:
	s_sub_i32 s16, s10, 32
	s_add_i32 s6, s12, 1
.LBB13_212:
	s_cbranch_execz .LBB13_214
	s_branch .LBB13_215
.LBB13_213:
                                        ; implicit-def: $sgpr16
                                        ; implicit-def: $sgpr6
.LBB13_214:
	s_sub_i32 s16, s10, 64
	s_add_i32 s6, s12, 2
.LBB13_215:
	s_mul_i32 s8, s6, s14
	s_waitcnt vmcnt(0)
	v_add_u32_e32 v18, s8, v0
	v_mov_b32_e32 v19, 0
	v_lshlrev_b64 v[18:19], 2, v[18:19]
	v_mov_b32_e32 v1, s1
	v_add_co_u32_e32 v18, vcc, s0, v18
	v_addc_co_u32_e32 v19, vcc, v1, v19, vcc
	global_load_dword v20, v[18:19], off
	s_cmp_lt_i32 s15, 21
	s_mov_b64 s[8:9], 0
	s_cbranch_scc1 .LBB13_218
; %bb.216:
	s_cmp_eq_u32 s15, 21
	s_cbranch_scc0 .LBB13_219
; %bb.217:
	s_add_i32 s10, s6, 1
	s_mul_i32 s10, s10, s14
	v_add_u32_e32 v18, s10, v0
	v_mov_b32_e32 v19, 0
	v_lshlrev_b64 v[18:19], 2, v[18:19]
	v_mov_b32_e32 v1, s1
	v_add_co_u32_e32 v18, vcc, s0, v18
	v_addc_co_u32_e32 v19, vcc, v1, v19, vcc
	global_load_dword v1, v[18:19], off
	s_mov_b64 s[10:11], 0
	s_waitcnt vmcnt(0)
	v_alignbit_b32 v1, v1, v20, 31
	v_and_b32_e32 v18, 7, v1
	s_branch .LBB13_220
.LBB13_218:
                                        ; implicit-def: $vgpr18_vgpr19
	s_mov_b64 s[10:11], 0
	s_cbranch_execnz .LBB13_221
	s_branch .LBB13_222
.LBB13_219:
	s_mov_b64 s[10:11], -1
                                        ; implicit-def: $vgpr18_vgpr19
.LBB13_220:
	s_branch .LBB13_222
.LBB13_221:
	s_cmp_lg_u32 s15, 10
	s_mov_b64 s[8:9], -1
	s_cselect_b64 s[10:11], -1, 0
                                        ; implicit-def: $vgpr18_vgpr19
.LBB13_222:
	s_andn2_b64 vcc, exec, s[10:11]
	s_cbranch_vccz .LBB13_228
; %bb.223:
	s_andn2_b64 vcc, exec, s[8:9]
	s_cbranch_vccnz .LBB13_225
.LBB13_224:
	s_add_i32 s6, s6, 1
	s_mul_i32 s6, s6, s14
	v_add_u32_e32 v18, s6, v0
	v_mov_b32_e32 v19, 0
	v_lshlrev_b64 v[18:19], 2, v[18:19]
	v_mov_b32_e32 v1, s1
	v_add_co_u32_e32 v18, vcc, s0, v18
	v_addc_co_u32_e32 v19, vcc, v1, v19, vcc
	global_load_dword v1, v[18:19], off
	s_waitcnt vmcnt(0)
	v_alignbit_b32 v1, v1, v20, 30
	v_and_b32_e32 v18, 7, v1
.LBB13_225:
	s_load_dword s6, s[4:5], 0x24
	s_waitcnt lgkmcnt(0)
	s_ashr_i32 s8, s6, 31
	s_lshr_b32 s8, s8, 27
	s_add_i32 s8, s6, s8
	s_ashr_i32 s12, s8, 5
	s_andn2_b32 s8, s8, 31
	s_sub_i32 s15, s6, s8
	s_cmp_lt_i32 s15, 21
	s_mul_i32 s12, s12, 3
	s_cbranch_scc1 .LBB13_229
; %bb.226:
	s_cmp_eq_u32 s15, 21
	s_cbranch_scc0 .LBB13_230
; %bb.227:
	s_add_i32 s6, s12, 1
	s_mov_b64 s[8:9], 0
	s_mov_b32 s16, 24
	s_branch .LBB13_231
.LBB13_228:
	v_mov_b32_e32 v21, 0
	s_waitcnt vmcnt(0)
	v_lshrrev_b64 v[18:19], s16, v[20:21]
	v_and_b32_e32 v18, 7, v18
	s_cbranch_execz .LBB13_224
	s_branch .LBB13_225
.LBB13_229:
	s_mov_b64 s[8:9], 0
                                        ; implicit-def: $sgpr16
                                        ; implicit-def: $sgpr6
	s_cbranch_execnz .LBB13_232
	s_branch .LBB13_233
.LBB13_230:
	s_mov_b64 s[8:9], -1
                                        ; implicit-def: $sgpr16
                                        ; implicit-def: $sgpr6
.LBB13_231:
	s_branch .LBB13_233
.LBB13_232:
	s_cmp_lg_u32 s15, 10
	s_mov_b32 s16, 24
	s_cselect_b64 s[8:9], -1, 0
	s_mov_b32 s6, s12
.LBB13_233:
	s_andn2_b64 vcc, exec, s[8:9]
	s_cbranch_vccnz .LBB13_240
; %bb.234:
	s_cmp_gt_i32 s15, 21
	s_mul_i32 s10, s15, 3
	s_cbranch_scc1 .LBB13_238
; %bb.235:
	s_cmp_lt_i32 s15, 11
	s_mov_b32 s16, s10
	s_mov_b32 s6, s12
	s_cbranch_scc1 .LBB13_237
; %bb.236:
	s_sub_i32 s16, s10, 32
	s_add_i32 s6, s12, 1
.LBB13_237:
	s_cbranch_execz .LBB13_239
	s_branch .LBB13_240
.LBB13_238:
                                        ; implicit-def: $sgpr16
                                        ; implicit-def: $sgpr6
.LBB13_239:
	s_sub_i32 s16, s10, 64
	s_add_i32 s6, s12, 2
.LBB13_240:
	s_mul_i32 s8, s6, s14
	s_waitcnt vmcnt(0)
	v_add_u32_e32 v20, s8, v0
	v_mov_b32_e32 v21, 0
	v_lshlrev_b64 v[20:21], 2, v[20:21]
	v_mov_b32_e32 v1, s1
	v_add_co_u32_e32 v20, vcc, s0, v20
	v_addc_co_u32_e32 v21, vcc, v1, v21, vcc
	global_load_dword v22, v[20:21], off
	s_cmp_lt_i32 s15, 21
	s_mov_b64 s[8:9], 0
	s_cbranch_scc1 .LBB13_243
; %bb.241:
	s_cmp_eq_u32 s15, 21
	s_cbranch_scc0 .LBB13_244
; %bb.242:
	s_add_i32 s10, s6, 1
	s_mul_i32 s10, s10, s14
	v_add_u32_e32 v20, s10, v0
	v_mov_b32_e32 v21, 0
	v_lshlrev_b64 v[20:21], 2, v[20:21]
	v_mov_b32_e32 v1, s1
	v_add_co_u32_e32 v20, vcc, s0, v20
	v_addc_co_u32_e32 v21, vcc, v1, v21, vcc
	global_load_dword v1, v[20:21], off
	s_mov_b64 s[10:11], 0
	s_waitcnt vmcnt(0)
	v_alignbit_b32 v1, v1, v22, 31
	v_and_b32_e32 v20, 7, v1
	s_branch .LBB13_245
.LBB13_243:
                                        ; implicit-def: $vgpr20_vgpr21
	s_mov_b64 s[10:11], 0
	s_cbranch_execnz .LBB13_246
	s_branch .LBB13_247
.LBB13_244:
	s_mov_b64 s[10:11], -1
                                        ; implicit-def: $vgpr20_vgpr21
.LBB13_245:
	s_branch .LBB13_247
.LBB13_246:
	s_cmp_lg_u32 s15, 10
	s_mov_b64 s[8:9], -1
	s_cselect_b64 s[10:11], -1, 0
                                        ; implicit-def: $vgpr20_vgpr21
.LBB13_247:
	s_andn2_b64 vcc, exec, s[10:11]
	s_cbranch_vccz .LBB13_253
; %bb.248:
	s_andn2_b64 vcc, exec, s[8:9]
	s_cbranch_vccnz .LBB13_250
.LBB13_249:
	s_add_i32 s6, s6, 1
	s_mul_i32 s6, s6, s14
	v_add_u32_e32 v20, s6, v0
	v_mov_b32_e32 v21, 0
	v_lshlrev_b64 v[20:21], 2, v[20:21]
	v_mov_b32_e32 v1, s1
	v_add_co_u32_e32 v20, vcc, s0, v20
	v_addc_co_u32_e32 v21, vcc, v1, v21, vcc
	global_load_dword v1, v[20:21], off
	s_waitcnt vmcnt(0)
	v_alignbit_b32 v1, v1, v22, 30
	v_and_b32_e32 v20, 7, v1
.LBB13_250:
	s_load_dword s6, s[4:5], 0x28
	s_waitcnt lgkmcnt(0)
	s_ashr_i32 s8, s6, 31
	s_lshr_b32 s8, s8, 27
	s_add_i32 s8, s6, s8
	s_ashr_i32 s12, s8, 5
	s_andn2_b32 s8, s8, 31
	s_sub_i32 s16, s6, s8
	s_cmp_lt_i32 s16, 21
	s_mul_i32 s12, s12, 3
	s_cbranch_scc1 .LBB13_254
; %bb.251:
	s_cmp_eq_u32 s16, 21
	s_cbranch_scc0 .LBB13_255
; %bb.252:
	s_add_i32 s15, s12, 1
	s_mov_b64 s[8:9], 0
	s_mov_b32 s6, 27
	s_branch .LBB13_256
.LBB13_253:
	v_mov_b32_e32 v23, 0
	s_waitcnt vmcnt(0)
	v_lshrrev_b64 v[20:21], s16, v[22:23]
	v_and_b32_e32 v20, 7, v20
	s_cbranch_execz .LBB13_249
	s_branch .LBB13_250
.LBB13_254:
	s_mov_b64 s[8:9], 0
                                        ; implicit-def: $sgpr6
                                        ; implicit-def: $sgpr15
	s_cbranch_execnz .LBB13_257
	s_branch .LBB13_258
.LBB13_255:
	s_mov_b64 s[8:9], -1
                                        ; implicit-def: $sgpr6
                                        ; implicit-def: $sgpr15
.LBB13_256:
	s_branch .LBB13_258
.LBB13_257:
	s_cmp_lg_u32 s16, 10
	s_mov_b32 s6, 27
	s_cselect_b64 s[8:9], -1, 0
	s_mov_b32 s15, s12
.LBB13_258:
	s_andn2_b64 vcc, exec, s[8:9]
	s_cbranch_vccnz .LBB13_265
; %bb.259:
	s_cmp_gt_i32 s16, 21
	s_mul_i32 s10, s16, 3
	s_cbranch_scc1 .LBB13_263
; %bb.260:
	s_cmp_lt_i32 s16, 11
	s_mov_b32 s6, s10
	s_mov_b32 s15, s12
	s_cbranch_scc1 .LBB13_262
; %bb.261:
	s_sub_i32 s6, s10, 32
	s_add_i32 s15, s12, 1
.LBB13_262:
	s_cbranch_execz .LBB13_264
	s_branch .LBB13_265
.LBB13_263:
                                        ; implicit-def: $sgpr6
                                        ; implicit-def: $sgpr15
.LBB13_264:
	s_sub_i32 s6, s10, 64
	s_add_i32 s15, s12, 2
.LBB13_265:
	s_mul_i32 s8, s15, s14
	s_waitcnt vmcnt(0)
	v_add_u32_e32 v22, s8, v0
	v_mov_b32_e32 v23, 0
	v_lshlrev_b64 v[22:23], 2, v[22:23]
	v_mov_b32_e32 v1, s1
	v_add_co_u32_e32 v22, vcc, s0, v22
	v_addc_co_u32_e32 v23, vcc, v1, v23, vcc
	global_load_dword v24, v[22:23], off
	s_cmp_lt_i32 s16, 21
	s_mov_b64 s[8:9], 0
	s_cbranch_scc1 .LBB13_268
; %bb.266:
	s_cmp_eq_u32 s16, 21
	s_cbranch_scc0 .LBB13_269
; %bb.267:
	s_add_i32 s10, s15, 1
	s_mul_i32 s10, s10, s14
	v_add_u32_e32 v22, s10, v0
	v_mov_b32_e32 v23, 0
	v_lshlrev_b64 v[22:23], 2, v[22:23]
	v_mov_b32_e32 v1, s1
	v_add_co_u32_e32 v22, vcc, s0, v22
	v_addc_co_u32_e32 v23, vcc, v1, v23, vcc
	global_load_dword v1, v[22:23], off
	s_mov_b64 s[10:11], 0
	s_waitcnt vmcnt(0)
	v_alignbit_b32 v1, v1, v24, 31
	v_and_b32_e32 v22, 7, v1
	s_branch .LBB13_270
.LBB13_268:
                                        ; implicit-def: $vgpr22_vgpr23
	s_mov_b64 s[10:11], 0
	s_cbranch_execnz .LBB13_271
	s_branch .LBB13_272
.LBB13_269:
	s_mov_b64 s[10:11], -1
                                        ; implicit-def: $vgpr22_vgpr23
.LBB13_270:
	s_branch .LBB13_272
.LBB13_271:
	s_cmp_lg_u32 s16, 10
	s_mov_b64 s[8:9], -1
	s_cselect_b64 s[10:11], -1, 0
                                        ; implicit-def: $vgpr22_vgpr23
.LBB13_272:
	s_andn2_b64 vcc, exec, s[10:11]
	s_cbranch_vccz .LBB13_278
; %bb.273:
	s_andn2_b64 vcc, exec, s[8:9]
	s_cbranch_vccnz .LBB13_275
.LBB13_274:
	s_add_i32 s8, s15, 1
	s_mul_i32 s8, s8, s14
	v_add_u32_e32 v22, s8, v0
	v_mov_b32_e32 v23, 0
	v_lshlrev_b64 v[22:23], 2, v[22:23]
	v_mov_b32_e32 v1, s1
	v_add_co_u32_e32 v22, vcc, s0, v22
	v_addc_co_u32_e32 v23, vcc, v1, v23, vcc
	global_load_dword v1, v[22:23], off
	s_waitcnt vmcnt(0)
	v_alignbit_b32 v1, v1, v24, 30
	v_and_b32_e32 v22, 7, v1
.LBB13_275:
	s_load_dword s8, s[4:5], 0x2c
	s_waitcnt lgkmcnt(0)
	s_ashr_i32 s9, s8, 31
	s_lshr_b32 s9, s9, 27
	s_add_i32 s9, s8, s9
	s_ashr_i32 s12, s9, 5
	s_andn2_b32 s9, s9, 31
	s_sub_i32 s16, s8, s9
	s_cmp_lt_i32 s16, 21
	s_mul_i32 s12, s12, 3
	s_cbranch_scc1 .LBB13_279
; %bb.276:
	s_cmp_eq_u32 s16, 21
	s_cbranch_scc0 .LBB13_280
; %bb.277:
	s_add_i32 s15, s12, 1
	s_mov_b64 s[8:9], 0
	s_branch .LBB13_281
.LBB13_278:
	v_mov_b32_e32 v25, 0
	s_waitcnt vmcnt(0)
	v_lshrrev_b64 v[22:23], s6, v[24:25]
	v_and_b32_e32 v22, 7, v22
	s_cbranch_execz .LBB13_274
	s_branch .LBB13_275
.LBB13_279:
	s_mov_b64 s[8:9], 0
                                        ; implicit-def: $sgpr15
	s_cbranch_execnz .LBB13_282
	s_branch .LBB13_283
.LBB13_280:
	s_mov_b64 s[8:9], -1
                                        ; implicit-def: $sgpr15
.LBB13_281:
	s_branch .LBB13_283
.LBB13_282:
	s_cmp_lg_u32 s16, 10
	s_cselect_b64 s[8:9], -1, 0
	s_mov_b32 s15, s12
.LBB13_283:
	s_andn2_b64 vcc, exec, s[8:9]
	s_cbranch_vccnz .LBB13_290
; %bb.284:
	s_cmp_gt_i32 s16, 21
	s_mul_i32 s10, s16, 3
	s_cbranch_scc1 .LBB13_288
; %bb.285:
	s_cmp_lt_i32 s16, 11
	s_mov_b32 s6, s10
	s_mov_b32 s15, s12
	s_cbranch_scc1 .LBB13_287
; %bb.286:
	s_sub_i32 s6, s10, 32
	s_add_i32 s15, s12, 1
.LBB13_287:
	s_cbranch_execz .LBB13_289
	s_branch .LBB13_290
.LBB13_288:
                                        ; implicit-def: $sgpr6
                                        ; implicit-def: $sgpr15
.LBB13_289:
	s_sub_i32 s6, s10, 64
	s_add_i32 s15, s12, 2
.LBB13_290:
	s_mul_i32 s8, s15, s14
	s_waitcnt vmcnt(0)
	v_add_u32_e32 v24, s8, v0
	v_mov_b32_e32 v25, 0
	v_lshlrev_b64 v[24:25], 2, v[24:25]
	v_mov_b32_e32 v1, s1
	v_add_co_u32_e32 v24, vcc, s0, v24
	v_addc_co_u32_e32 v25, vcc, v1, v25, vcc
	global_load_dword v26, v[24:25], off
	s_cmp_lt_i32 s16, 21
	s_mov_b64 s[8:9], 0
	s_cbranch_scc1 .LBB13_293
; %bb.291:
	s_cmp_eq_u32 s16, 21
	s_cbranch_scc0 .LBB13_294
; %bb.292:
	s_add_i32 s10, s15, 1
	s_mul_i32 s10, s10, s14
	v_add_u32_e32 v24, s10, v0
	v_mov_b32_e32 v25, 0
	v_lshlrev_b64 v[24:25], 2, v[24:25]
	v_mov_b32_e32 v1, s1
	v_add_co_u32_e32 v24, vcc, s0, v24
	v_addc_co_u32_e32 v25, vcc, v1, v25, vcc
	global_load_dword v1, v[24:25], off
	s_mov_b64 s[10:11], 0
	s_waitcnt vmcnt(0)
	v_alignbit_b32 v1, v1, v26, 31
	v_and_b32_e32 v24, 7, v1
	s_branch .LBB13_295
.LBB13_293:
                                        ; implicit-def: $vgpr24_vgpr25
	s_mov_b64 s[10:11], 0
	s_cbranch_execnz .LBB13_296
	s_branch .LBB13_297
.LBB13_294:
	s_mov_b64 s[10:11], -1
                                        ; implicit-def: $vgpr24_vgpr25
.LBB13_295:
	s_branch .LBB13_297
.LBB13_296:
	s_cmp_lg_u32 s16, 10
	s_mov_b64 s[8:9], -1
	s_cselect_b64 s[10:11], -1, 0
                                        ; implicit-def: $vgpr24_vgpr25
.LBB13_297:
	s_andn2_b64 vcc, exec, s[10:11]
	s_cbranch_vccz .LBB13_303
; %bb.298:
	s_andn2_b64 vcc, exec, s[8:9]
	s_cbranch_vccnz .LBB13_300
.LBB13_299:
	s_add_i32 s6, s15, 1
	s_mul_i32 s6, s6, s14
	v_add_u32_e32 v24, s6, v0
	v_mov_b32_e32 v25, 0
	v_lshlrev_b64 v[24:25], 2, v[24:25]
	v_mov_b32_e32 v1, s1
	v_add_co_u32_e32 v24, vcc, s0, v24
	v_addc_co_u32_e32 v25, vcc, v1, v25, vcc
	global_load_dword v1, v[24:25], off
	s_waitcnt vmcnt(0)
	v_alignbit_b32 v1, v1, v26, 30
	v_and_b32_e32 v24, 7, v1
.LBB13_300:
	s_load_dword s6, s[4:5], 0x30
	s_waitcnt lgkmcnt(0)
	s_ashr_i32 s8, s6, 31
	s_lshr_b32 s8, s8, 27
	s_add_i32 s8, s6, s8
	s_ashr_i32 s12, s8, 5
	s_andn2_b32 s8, s8, 31
	s_sub_i32 s15, s6, s8
	s_cmp_lt_i32 s15, 21
	s_mul_i32 s12, s12, 3
	s_cbranch_scc1 .LBB13_304
; %bb.301:
	s_cmp_eq_u32 s15, 21
	s_cbranch_scc0 .LBB13_305
; %bb.302:
	s_mov_b32 s16, 1
	s_add_i32 s6, s12, 1
	s_mov_b64 s[8:9], 0
	s_branch .LBB13_306
.LBB13_303:
	v_mov_b32_e32 v27, 0
	s_waitcnt vmcnt(0)
	v_lshrrev_b64 v[24:25], s6, v[26:27]
	v_and_b32_e32 v24, 7, v24
	s_cbranch_execz .LBB13_299
	s_branch .LBB13_300
.LBB13_304:
	s_mov_b64 s[8:9], 0
                                        ; implicit-def: $sgpr16
                                        ; implicit-def: $sgpr6
	s_cbranch_execnz .LBB13_307
	s_branch .LBB13_308
.LBB13_305:
	s_mov_b64 s[8:9], -1
                                        ; implicit-def: $sgpr16
                                        ; implicit-def: $sgpr6
.LBB13_306:
	s_branch .LBB13_308
.LBB13_307:
	s_cmp_lg_u32 s15, 10
	s_mov_b32 s16, 1
	s_cselect_b64 s[8:9], -1, 0
	s_mov_b32 s6, s12
.LBB13_308:
	s_andn2_b64 vcc, exec, s[8:9]
	s_cbranch_vccnz .LBB13_315
; %bb.309:
	s_cmp_gt_i32 s15, 21
	s_mul_i32 s10, s15, 3
	s_cbranch_scc1 .LBB13_313
; %bb.310:
	s_cmp_lt_i32 s15, 11
	s_mov_b32 s16, s10
	s_mov_b32 s6, s12
	s_cbranch_scc1 .LBB13_312
; %bb.311:
	s_sub_i32 s16, s10, 32
	s_add_i32 s6, s12, 1
.LBB13_312:
	s_cbranch_execz .LBB13_314
	s_branch .LBB13_315
.LBB13_313:
                                        ; implicit-def: $sgpr16
                                        ; implicit-def: $sgpr6
.LBB13_314:
	s_sub_i32 s16, s10, 64
	s_add_i32 s6, s12, 2
.LBB13_315:
	s_mul_i32 s8, s6, s14
	s_waitcnt vmcnt(0)
	v_add_u32_e32 v26, s8, v0
	v_mov_b32_e32 v27, 0
	v_lshlrev_b64 v[26:27], 2, v[26:27]
	v_mov_b32_e32 v1, s1
	v_add_co_u32_e32 v26, vcc, s0, v26
	v_addc_co_u32_e32 v27, vcc, v1, v27, vcc
	global_load_dword v28, v[26:27], off
	s_cmp_lt_i32 s15, 21
	s_mov_b64 s[8:9], 0
	s_cbranch_scc1 .LBB13_318
; %bb.316:
	s_cmp_eq_u32 s15, 21
	s_cbranch_scc0 .LBB13_319
; %bb.317:
	s_add_i32 s10, s6, 1
	s_mul_i32 s10, s10, s14
	v_add_u32_e32 v26, s10, v0
	v_mov_b32_e32 v27, 0
	v_lshlrev_b64 v[26:27], 2, v[26:27]
	v_mov_b32_e32 v1, s1
	v_add_co_u32_e32 v26, vcc, s0, v26
	v_addc_co_u32_e32 v27, vcc, v1, v27, vcc
	global_load_dword v1, v[26:27], off
	s_mov_b64 s[10:11], 0
	s_waitcnt vmcnt(0)
	v_alignbit_b32 v1, v1, v28, 31
	v_and_b32_e32 v26, 7, v1
	s_branch .LBB13_320
.LBB13_318:
                                        ; implicit-def: $vgpr26_vgpr27
	s_mov_b64 s[10:11], 0
	s_cbranch_execnz .LBB13_321
	s_branch .LBB13_322
.LBB13_319:
	s_mov_b64 s[10:11], -1
                                        ; implicit-def: $vgpr26_vgpr27
.LBB13_320:
	s_branch .LBB13_322
.LBB13_321:
	s_cmp_lg_u32 s15, 10
	s_mov_b64 s[8:9], -1
	s_cselect_b64 s[10:11], -1, 0
                                        ; implicit-def: $vgpr26_vgpr27
.LBB13_322:
	s_andn2_b64 vcc, exec, s[10:11]
	s_cbranch_vccz .LBB13_328
; %bb.323:
	s_andn2_b64 vcc, exec, s[8:9]
	s_cbranch_vccnz .LBB13_325
.LBB13_324:
	s_add_i32 s6, s6, 1
	s_mul_i32 s6, s6, s14
	v_add_u32_e32 v26, s6, v0
	v_mov_b32_e32 v27, 0
	v_lshlrev_b64 v[26:27], 2, v[26:27]
	v_mov_b32_e32 v1, s1
	v_add_co_u32_e32 v26, vcc, s0, v26
	v_addc_co_u32_e32 v27, vcc, v1, v27, vcc
	global_load_dword v1, v[26:27], off
	s_waitcnt vmcnt(0)
	v_alignbit_b32 v1, v1, v28, 30
	v_and_b32_e32 v26, 7, v1
.LBB13_325:
	s_load_dword s6, s[4:5], 0x34
	s_waitcnt lgkmcnt(0)
	s_ashr_i32 s8, s6, 31
	s_lshr_b32 s8, s8, 27
	s_add_i32 s8, s6, s8
	s_ashr_i32 s12, s8, 5
	s_andn2_b32 s8, s8, 31
	s_sub_i32 s15, s6, s8
	s_cmp_lt_i32 s15, 21
	s_mul_i32 s12, s12, 3
	s_cbranch_scc1 .LBB13_329
; %bb.326:
	s_cmp_eq_u32 s15, 21
	s_cbranch_scc0 .LBB13_330
; %bb.327:
	s_add_i32 s6, s12, 1
	s_mov_b64 s[8:9], 0
	s_mov_b32 s16, 4
	s_branch .LBB13_331
.LBB13_328:
	v_mov_b32_e32 v29, 0
	s_waitcnt vmcnt(0)
	v_lshrrev_b64 v[26:27], s16, v[28:29]
	v_and_b32_e32 v26, 7, v26
	s_cbranch_execz .LBB13_324
	s_branch .LBB13_325
.LBB13_329:
	s_mov_b64 s[8:9], 0
                                        ; implicit-def: $sgpr16
                                        ; implicit-def: $sgpr6
	s_cbranch_execnz .LBB13_332
	s_branch .LBB13_333
.LBB13_330:
	s_mov_b64 s[8:9], -1
                                        ; implicit-def: $sgpr16
                                        ; implicit-def: $sgpr6
.LBB13_331:
	s_branch .LBB13_333
.LBB13_332:
	s_cmp_lg_u32 s15, 10
	s_mov_b32 s16, 4
	s_cselect_b64 s[8:9], -1, 0
	s_mov_b32 s6, s12
.LBB13_333:
	s_andn2_b64 vcc, exec, s[8:9]
	s_cbranch_vccnz .LBB13_340
; %bb.334:
	s_cmp_gt_i32 s15, 21
	s_mul_i32 s10, s15, 3
	s_cbranch_scc1 .LBB13_338
; %bb.335:
	s_cmp_lt_i32 s15, 11
	s_mov_b32 s16, s10
	s_mov_b32 s6, s12
	s_cbranch_scc1 .LBB13_337
; %bb.336:
	s_sub_i32 s16, s10, 32
	s_add_i32 s6, s12, 1
.LBB13_337:
	s_cbranch_execz .LBB13_339
	s_branch .LBB13_340
.LBB13_338:
                                        ; implicit-def: $sgpr16
                                        ; implicit-def: $sgpr6
.LBB13_339:
	s_sub_i32 s16, s10, 64
	s_add_i32 s6, s12, 2
.LBB13_340:
	s_mul_i32 s8, s6, s14
	s_waitcnt vmcnt(0)
	v_add_u32_e32 v28, s8, v0
	v_mov_b32_e32 v29, 0
	v_lshlrev_b64 v[28:29], 2, v[28:29]
	v_mov_b32_e32 v1, s1
	v_add_co_u32_e32 v28, vcc, s0, v28
	v_addc_co_u32_e32 v29, vcc, v1, v29, vcc
	global_load_dword v30, v[28:29], off
	s_cmp_lt_i32 s15, 21
	s_mov_b64 s[8:9], 0
	s_cbranch_scc1 .LBB13_343
; %bb.341:
	s_cmp_eq_u32 s15, 21
	s_cbranch_scc0 .LBB13_344
; %bb.342:
	s_add_i32 s10, s6, 1
	s_mul_i32 s10, s10, s14
	v_add_u32_e32 v28, s10, v0
	v_mov_b32_e32 v29, 0
	v_lshlrev_b64 v[28:29], 2, v[28:29]
	v_mov_b32_e32 v1, s1
	v_add_co_u32_e32 v28, vcc, s0, v28
	v_addc_co_u32_e32 v29, vcc, v1, v29, vcc
	global_load_dword v1, v[28:29], off
	s_mov_b64 s[10:11], 0
	s_waitcnt vmcnt(0)
	v_alignbit_b32 v1, v1, v30, 31
	v_and_b32_e32 v28, 7, v1
	s_branch .LBB13_345
.LBB13_343:
                                        ; implicit-def: $vgpr28_vgpr29
	s_mov_b64 s[10:11], 0
	s_cbranch_execnz .LBB13_346
	s_branch .LBB13_347
.LBB13_344:
	s_mov_b64 s[10:11], -1
                                        ; implicit-def: $vgpr28_vgpr29
.LBB13_345:
	s_branch .LBB13_347
.LBB13_346:
	s_cmp_lg_u32 s15, 10
	s_mov_b64 s[8:9], -1
	s_cselect_b64 s[10:11], -1, 0
                                        ; implicit-def: $vgpr28_vgpr29
.LBB13_347:
	s_andn2_b64 vcc, exec, s[10:11]
	s_cbranch_vccz .LBB13_353
; %bb.348:
	s_andn2_b64 vcc, exec, s[8:9]
	s_cbranch_vccnz .LBB13_350
.LBB13_349:
	s_add_i32 s6, s6, 1
	s_mul_i32 s6, s6, s14
	v_add_u32_e32 v28, s6, v0
	v_mov_b32_e32 v29, 0
	v_lshlrev_b64 v[28:29], 2, v[28:29]
	v_mov_b32_e32 v1, s1
	v_add_co_u32_e32 v28, vcc, s0, v28
	v_addc_co_u32_e32 v29, vcc, v1, v29, vcc
	global_load_dword v1, v[28:29], off
	s_waitcnt vmcnt(0)
	v_alignbit_b32 v1, v1, v30, 30
	v_and_b32_e32 v28, 7, v1
.LBB13_350:
	s_load_dword s6, s[4:5], 0x38
	s_waitcnt lgkmcnt(0)
	s_ashr_i32 s8, s6, 31
	s_lshr_b32 s8, s8, 27
	s_add_i32 s8, s6, s8
	s_ashr_i32 s12, s8, 5
	s_andn2_b32 s8, s8, 31
	s_sub_i32 s15, s6, s8
	s_cmp_lt_i32 s15, 21
	s_mul_i32 s12, s12, 3
	s_cbranch_scc1 .LBB13_354
; %bb.351:
	s_cmp_eq_u32 s15, 21
	s_cbranch_scc0 .LBB13_355
; %bb.352:
	s_add_i32 s6, s12, 1
	s_mov_b64 s[8:9], 0
	s_mov_b32 s16, 7
	s_branch .LBB13_356
.LBB13_353:
	v_mov_b32_e32 v31, 0
	s_waitcnt vmcnt(0)
	v_lshrrev_b64 v[28:29], s16, v[30:31]
	v_and_b32_e32 v28, 7, v28
	s_cbranch_execz .LBB13_349
	s_branch .LBB13_350
.LBB13_354:
	s_mov_b64 s[8:9], 0
                                        ; implicit-def: $sgpr16
                                        ; implicit-def: $sgpr6
	s_cbranch_execnz .LBB13_357
	s_branch .LBB13_358
.LBB13_355:
	s_mov_b64 s[8:9], -1
                                        ; implicit-def: $sgpr16
                                        ; implicit-def: $sgpr6
.LBB13_356:
	s_branch .LBB13_358
.LBB13_357:
	s_cmp_lg_u32 s15, 10
	s_mov_b32 s16, 7
	s_cselect_b64 s[8:9], -1, 0
	s_mov_b32 s6, s12
.LBB13_358:
	s_andn2_b64 vcc, exec, s[8:9]
	s_cbranch_vccnz .LBB13_365
; %bb.359:
	s_cmp_gt_i32 s15, 21
	s_mul_i32 s10, s15, 3
	s_cbranch_scc1 .LBB13_363
; %bb.360:
	s_cmp_lt_i32 s15, 11
	s_mov_b32 s16, s10
	s_mov_b32 s6, s12
	s_cbranch_scc1 .LBB13_362
; %bb.361:
	s_sub_i32 s16, s10, 32
	s_add_i32 s6, s12, 1
.LBB13_362:
	s_cbranch_execz .LBB13_364
	s_branch .LBB13_365
.LBB13_363:
                                        ; implicit-def: $sgpr16
                                        ; implicit-def: $sgpr6
.LBB13_364:
	s_sub_i32 s16, s10, 64
	s_add_i32 s6, s12, 2
.LBB13_365:
	s_mul_i32 s8, s6, s14
	s_waitcnt vmcnt(0)
	v_add_u32_e32 v30, s8, v0
	v_mov_b32_e32 v31, 0
	v_lshlrev_b64 v[30:31], 2, v[30:31]
	v_mov_b32_e32 v1, s1
	v_add_co_u32_e32 v30, vcc, s0, v30
	v_addc_co_u32_e32 v31, vcc, v1, v31, vcc
	global_load_dword v32, v[30:31], off
	s_cmp_lt_i32 s15, 21
	s_mov_b64 s[8:9], 0
	s_cbranch_scc1 .LBB13_368
; %bb.366:
	s_cmp_eq_u32 s15, 21
	s_cbranch_scc0 .LBB13_369
; %bb.367:
	s_add_i32 s10, s6, 1
	s_mul_i32 s10, s10, s14
	v_add_u32_e32 v30, s10, v0
	v_mov_b32_e32 v31, 0
	v_lshlrev_b64 v[30:31], 2, v[30:31]
	v_mov_b32_e32 v1, s1
	v_add_co_u32_e32 v30, vcc, s0, v30
	v_addc_co_u32_e32 v31, vcc, v1, v31, vcc
	global_load_dword v1, v[30:31], off
	s_mov_b64 s[10:11], 0
	s_waitcnt vmcnt(0)
	v_alignbit_b32 v1, v1, v32, 31
	v_and_b32_e32 v30, 7, v1
	s_branch .LBB13_370
.LBB13_368:
                                        ; implicit-def: $vgpr30_vgpr31
	s_mov_b64 s[10:11], 0
	s_cbranch_execnz .LBB13_371
	s_branch .LBB13_372
.LBB13_369:
	s_mov_b64 s[10:11], -1
                                        ; implicit-def: $vgpr30_vgpr31
.LBB13_370:
	s_branch .LBB13_372
.LBB13_371:
	s_cmp_lg_u32 s15, 10
	s_mov_b64 s[8:9], -1
	s_cselect_b64 s[10:11], -1, 0
                                        ; implicit-def: $vgpr30_vgpr31
.LBB13_372:
	s_andn2_b64 vcc, exec, s[10:11]
	s_cbranch_vccz .LBB13_378
; %bb.373:
	s_andn2_b64 vcc, exec, s[8:9]
	s_cbranch_vccnz .LBB13_375
.LBB13_374:
	s_add_i32 s6, s6, 1
	s_mul_i32 s6, s6, s14
	v_add_u32_e32 v30, s6, v0
	v_mov_b32_e32 v31, 0
	v_lshlrev_b64 v[30:31], 2, v[30:31]
	v_mov_b32_e32 v1, s1
	v_add_co_u32_e32 v30, vcc, s0, v30
	v_addc_co_u32_e32 v31, vcc, v1, v31, vcc
	global_load_dword v1, v[30:31], off
	s_waitcnt vmcnt(0)
	v_alignbit_b32 v1, v1, v32, 30
	v_and_b32_e32 v30, 7, v1
.LBB13_375:
	s_load_dword s6, s[4:5], 0x3c
	s_waitcnt lgkmcnt(0)
	s_ashr_i32 s8, s6, 31
	s_lshr_b32 s8, s8, 27
	s_add_i32 s8, s6, s8
	s_ashr_i32 s12, s8, 5
	s_andn2_b32 s8, s8, 31
	s_sub_i32 s15, s6, s8
	s_cmp_lt_i32 s15, 21
	s_mul_i32 s12, s12, 3
	s_cbranch_scc1 .LBB13_379
; %bb.376:
	s_cmp_eq_u32 s15, 21
	s_cbranch_scc0 .LBB13_380
; %bb.377:
	s_add_i32 s6, s12, 1
	s_mov_b64 s[8:9], 0
	s_mov_b32 s16, 10
	s_branch .LBB13_381
.LBB13_378:
	v_mov_b32_e32 v33, 0
	s_waitcnt vmcnt(0)
	v_lshrrev_b64 v[30:31], s16, v[32:33]
	v_and_b32_e32 v30, 7, v30
	s_cbranch_execz .LBB13_374
	s_branch .LBB13_375
.LBB13_379:
	s_mov_b64 s[8:9], 0
                                        ; implicit-def: $sgpr16
                                        ; implicit-def: $sgpr6
	s_cbranch_execnz .LBB13_382
	s_branch .LBB13_383
.LBB13_380:
	s_mov_b64 s[8:9], -1
                                        ; implicit-def: $sgpr16
                                        ; implicit-def: $sgpr6
.LBB13_381:
	s_branch .LBB13_383
.LBB13_382:
	s_cmp_lg_u32 s15, 10
	s_cselect_b64 s[8:9], -1, 0
	s_mov_b32 s16, s15
	s_mov_b32 s6, s12
.LBB13_383:
	s_andn2_b64 vcc, exec, s[8:9]
	s_cbranch_vccnz .LBB13_390
; %bb.384:
	s_cmp_gt_i32 s15, 21
	s_mul_i32 s10, s15, 3
	s_cbranch_scc1 .LBB13_388
; %bb.385:
	s_cmp_lt_i32 s15, 11
	s_mov_b32 s16, s10
	s_mov_b32 s6, s12
	s_cbranch_scc1 .LBB13_387
; %bb.386:
	s_sub_i32 s16, s10, 32
	s_add_i32 s6, s12, 1
.LBB13_387:
	s_cbranch_execz .LBB13_389
	s_branch .LBB13_390
.LBB13_388:
                                        ; implicit-def: $sgpr16
                                        ; implicit-def: $sgpr6
.LBB13_389:
	s_sub_i32 s16, s10, 64
	s_add_i32 s6, s12, 2
.LBB13_390:
	s_mul_i32 s8, s6, s14
	s_waitcnt vmcnt(0)
	v_add_u32_e32 v32, s8, v0
	v_mov_b32_e32 v33, 0
	v_lshlrev_b64 v[32:33], 2, v[32:33]
	v_mov_b32_e32 v1, s1
	v_add_co_u32_e32 v32, vcc, s0, v32
	v_addc_co_u32_e32 v33, vcc, v1, v33, vcc
	global_load_dword v34, v[32:33], off
	s_cmp_lt_i32 s15, 21
	s_mov_b64 s[8:9], 0
	s_cbranch_scc1 .LBB13_393
; %bb.391:
	s_cmp_eq_u32 s15, 21
	s_cbranch_scc0 .LBB13_394
; %bb.392:
	s_add_i32 s10, s6, 1
	s_mul_i32 s10, s10, s14
	v_add_u32_e32 v32, s10, v0
	v_mov_b32_e32 v33, 0
	v_lshlrev_b64 v[32:33], 2, v[32:33]
	v_mov_b32_e32 v1, s1
	v_add_co_u32_e32 v32, vcc, s0, v32
	v_addc_co_u32_e32 v33, vcc, v1, v33, vcc
	global_load_dword v1, v[32:33], off
	s_mov_b64 s[10:11], 0
	s_waitcnt vmcnt(0)
	v_alignbit_b32 v1, v1, v34, 31
	v_and_b32_e32 v32, 7, v1
	s_branch .LBB13_395
.LBB13_393:
                                        ; implicit-def: $vgpr32_vgpr33
	s_mov_b64 s[10:11], 0
	s_cbranch_execnz .LBB13_396
	s_branch .LBB13_397
.LBB13_394:
	s_mov_b64 s[10:11], -1
                                        ; implicit-def: $vgpr32_vgpr33
.LBB13_395:
	s_branch .LBB13_397
.LBB13_396:
	s_cmp_lg_u32 s15, 10
	s_mov_b64 s[8:9], -1
	s_cselect_b64 s[10:11], -1, 0
                                        ; implicit-def: $vgpr32_vgpr33
.LBB13_397:
	s_andn2_b64 vcc, exec, s[10:11]
	s_cbranch_vccz .LBB13_403
; %bb.398:
	s_andn2_b64 vcc, exec, s[8:9]
	s_cbranch_vccnz .LBB13_400
.LBB13_399:
	s_add_i32 s6, s6, 1
	s_mul_i32 s6, s6, s14
	v_add_u32_e32 v32, s6, v0
	v_mov_b32_e32 v33, 0
	v_lshlrev_b64 v[32:33], 2, v[32:33]
	v_mov_b32_e32 v1, s1
	v_add_co_u32_e32 v32, vcc, s0, v32
	v_addc_co_u32_e32 v33, vcc, v1, v33, vcc
	global_load_dword v1, v[32:33], off
	s_waitcnt vmcnt(0)
	v_alignbit_b32 v1, v1, v34, 30
	v_and_b32_e32 v32, 7, v1
.LBB13_400:
	s_load_dword s6, s[4:5], 0x40
	s_waitcnt lgkmcnt(0)
	s_ashr_i32 s8, s6, 31
	s_lshr_b32 s8, s8, 27
	s_add_i32 s8, s6, s8
	s_ashr_i32 s12, s8, 5
	s_andn2_b32 s8, s8, 31
	s_sub_i32 s15, s6, s8
	s_cmp_lt_i32 s15, 21
	s_mul_i32 s12, s12, 3
	s_cbranch_scc1 .LBB13_404
; %bb.401:
	s_cmp_eq_u32 s15, 21
	s_cbranch_scc0 .LBB13_405
; %bb.402:
	s_add_i32 s6, s12, 1
	s_mov_b64 s[8:9], 0
	s_mov_b32 s16, 13
	s_branch .LBB13_406
.LBB13_403:
	v_mov_b32_e32 v35, 0
	s_waitcnt vmcnt(0)
	v_lshrrev_b64 v[32:33], s16, v[34:35]
	v_and_b32_e32 v32, 7, v32
	s_cbranch_execz .LBB13_399
	s_branch .LBB13_400
.LBB13_404:
	s_mov_b64 s[8:9], 0
                                        ; implicit-def: $sgpr16
                                        ; implicit-def: $sgpr6
	s_cbranch_execnz .LBB13_407
	s_branch .LBB13_408
.LBB13_405:
	s_mov_b64 s[8:9], -1
                                        ; implicit-def: $sgpr16
                                        ; implicit-def: $sgpr6
.LBB13_406:
	s_branch .LBB13_408
.LBB13_407:
	s_cmp_lg_u32 s15, 10
	s_mov_b32 s16, 13
	s_cselect_b64 s[8:9], -1, 0
	s_mov_b32 s6, s12
.LBB13_408:
	s_andn2_b64 vcc, exec, s[8:9]
	s_cbranch_vccnz .LBB13_415
; %bb.409:
	s_cmp_gt_i32 s15, 21
	s_mul_i32 s10, s15, 3
	s_cbranch_scc1 .LBB13_413
; %bb.410:
	s_cmp_lt_i32 s15, 11
	s_mov_b32 s16, s10
	s_mov_b32 s6, s12
	s_cbranch_scc1 .LBB13_412
; %bb.411:
	s_sub_i32 s16, s10, 32
	s_add_i32 s6, s12, 1
.LBB13_412:
	s_cbranch_execz .LBB13_414
	s_branch .LBB13_415
.LBB13_413:
                                        ; implicit-def: $sgpr16
                                        ; implicit-def: $sgpr6
.LBB13_414:
	s_sub_i32 s16, s10, 64
	s_add_i32 s6, s12, 2
.LBB13_415:
	s_mul_i32 s8, s6, s14
	s_waitcnt vmcnt(0)
	v_add_u32_e32 v34, s8, v0
	v_mov_b32_e32 v35, 0
	v_lshlrev_b64 v[34:35], 2, v[34:35]
	v_mov_b32_e32 v1, s1
	v_add_co_u32_e32 v34, vcc, s0, v34
	v_addc_co_u32_e32 v35, vcc, v1, v35, vcc
	global_load_dword v36, v[34:35], off
	s_cmp_lt_i32 s15, 21
	s_mov_b64 s[8:9], 0
	s_cbranch_scc1 .LBB13_418
; %bb.416:
	s_cmp_eq_u32 s15, 21
	s_cbranch_scc0 .LBB13_419
; %bb.417:
	s_add_i32 s10, s6, 1
	s_mul_i32 s10, s10, s14
	v_add_u32_e32 v34, s10, v0
	v_mov_b32_e32 v35, 0
	v_lshlrev_b64 v[34:35], 2, v[34:35]
	v_mov_b32_e32 v1, s1
	v_add_co_u32_e32 v34, vcc, s0, v34
	v_addc_co_u32_e32 v35, vcc, v1, v35, vcc
	global_load_dword v1, v[34:35], off
	s_mov_b64 s[10:11], 0
	s_waitcnt vmcnt(0)
	v_alignbit_b32 v1, v1, v36, 31
	v_and_b32_e32 v34, 7, v1
	s_branch .LBB13_420
.LBB13_418:
                                        ; implicit-def: $vgpr34_vgpr35
	s_mov_b64 s[10:11], 0
	s_cbranch_execnz .LBB13_421
	s_branch .LBB13_422
.LBB13_419:
	s_mov_b64 s[10:11], -1
                                        ; implicit-def: $vgpr34_vgpr35
.LBB13_420:
	s_branch .LBB13_422
.LBB13_421:
	s_cmp_lg_u32 s15, 10
	s_mov_b64 s[8:9], -1
	s_cselect_b64 s[10:11], -1, 0
                                        ; implicit-def: $vgpr34_vgpr35
.LBB13_422:
	s_andn2_b64 vcc, exec, s[10:11]
	s_cbranch_vccz .LBB13_428
; %bb.423:
	s_andn2_b64 vcc, exec, s[8:9]
	s_cbranch_vccnz .LBB13_425
.LBB13_424:
	s_add_i32 s6, s6, 1
	s_mul_i32 s6, s6, s14
	v_add_u32_e32 v34, s6, v0
	v_mov_b32_e32 v35, 0
	v_lshlrev_b64 v[34:35], 2, v[34:35]
	v_mov_b32_e32 v1, s1
	v_add_co_u32_e32 v34, vcc, s0, v34
	v_addc_co_u32_e32 v35, vcc, v1, v35, vcc
	global_load_dword v1, v[34:35], off
	s_waitcnt vmcnt(0)
	v_alignbit_b32 v1, v1, v36, 30
	v_and_b32_e32 v34, 7, v1
.LBB13_425:
	s_load_dword s6, s[4:5], 0x44
	s_waitcnt lgkmcnt(0)
	s_ashr_i32 s8, s6, 31
	s_lshr_b32 s8, s8, 27
	s_add_i32 s8, s6, s8
	s_ashr_i32 s12, s8, 5
	s_andn2_b32 s8, s8, 31
	s_sub_i32 s15, s6, s8
	s_cmp_lt_i32 s15, 21
	s_mul_i32 s12, s12, 3
	s_cbranch_scc1 .LBB13_429
; %bb.426:
	s_cmp_eq_u32 s15, 21
	s_cbranch_scc0 .LBB13_430
; %bb.427:
	s_add_i32 s6, s12, 1
	s_mov_b64 s[8:9], 0
	s_mov_b32 s16, 16
	s_branch .LBB13_431
.LBB13_428:
	v_mov_b32_e32 v37, 0
	s_waitcnt vmcnt(0)
	v_lshrrev_b64 v[34:35], s16, v[36:37]
	v_and_b32_e32 v34, 7, v34
	s_cbranch_execz .LBB13_424
	s_branch .LBB13_425
.LBB13_429:
	s_mov_b64 s[8:9], 0
                                        ; implicit-def: $sgpr16
                                        ; implicit-def: $sgpr6
	s_cbranch_execnz .LBB13_432
	s_branch .LBB13_433
.LBB13_430:
	s_mov_b64 s[8:9], -1
                                        ; implicit-def: $sgpr16
                                        ; implicit-def: $sgpr6
.LBB13_431:
	s_branch .LBB13_433
.LBB13_432:
	s_cmp_lg_u32 s15, 10
	s_mov_b32 s16, 16
	s_cselect_b64 s[8:9], -1, 0
	s_mov_b32 s6, s12
.LBB13_433:
	s_andn2_b64 vcc, exec, s[8:9]
	s_cbranch_vccnz .LBB13_440
; %bb.434:
	s_cmp_gt_i32 s15, 21
	s_mul_i32 s10, s15, 3
	s_cbranch_scc1 .LBB13_438
; %bb.435:
	s_cmp_lt_i32 s15, 11
	s_mov_b32 s16, s10
	s_mov_b32 s6, s12
	s_cbranch_scc1 .LBB13_437
; %bb.436:
	s_sub_i32 s16, s10, 32
	s_add_i32 s6, s12, 1
.LBB13_437:
	s_cbranch_execz .LBB13_439
	s_branch .LBB13_440
.LBB13_438:
                                        ; implicit-def: $sgpr16
                                        ; implicit-def: $sgpr6
.LBB13_439:
	s_sub_i32 s16, s10, 64
	s_add_i32 s6, s12, 2
.LBB13_440:
	s_mul_i32 s8, s6, s14
	s_waitcnt vmcnt(0)
	v_add_u32_e32 v36, s8, v0
	v_mov_b32_e32 v37, 0
	v_lshlrev_b64 v[36:37], 2, v[36:37]
	v_mov_b32_e32 v1, s1
	v_add_co_u32_e32 v36, vcc, s0, v36
	v_addc_co_u32_e32 v37, vcc, v1, v37, vcc
	global_load_dword v38, v[36:37], off
	s_cmp_lt_i32 s15, 21
	s_mov_b64 s[8:9], 0
	s_cbranch_scc1 .LBB13_443
; %bb.441:
	s_cmp_eq_u32 s15, 21
	s_cbranch_scc0 .LBB13_444
; %bb.442:
	s_add_i32 s10, s6, 1
	s_mul_i32 s10, s10, s14
	v_add_u32_e32 v36, s10, v0
	v_mov_b32_e32 v37, 0
	v_lshlrev_b64 v[36:37], 2, v[36:37]
	v_mov_b32_e32 v1, s1
	v_add_co_u32_e32 v36, vcc, s0, v36
	v_addc_co_u32_e32 v37, vcc, v1, v37, vcc
	global_load_dword v1, v[36:37], off
	s_mov_b64 s[10:11], 0
	s_waitcnt vmcnt(0)
	v_alignbit_b32 v1, v1, v38, 31
	v_and_b32_e32 v36, 7, v1
	s_branch .LBB13_445
.LBB13_443:
                                        ; implicit-def: $vgpr36_vgpr37
	s_mov_b64 s[10:11], 0
	s_cbranch_execnz .LBB13_446
	s_branch .LBB13_447
.LBB13_444:
	s_mov_b64 s[10:11], -1
                                        ; implicit-def: $vgpr36_vgpr37
.LBB13_445:
	s_branch .LBB13_447
.LBB13_446:
	s_cmp_lg_u32 s15, 10
	s_mov_b64 s[8:9], -1
	s_cselect_b64 s[10:11], -1, 0
                                        ; implicit-def: $vgpr36_vgpr37
.LBB13_447:
	s_andn2_b64 vcc, exec, s[10:11]
	s_cbranch_vccz .LBB13_453
; %bb.448:
	s_andn2_b64 vcc, exec, s[8:9]
	s_cbranch_vccnz .LBB13_450
.LBB13_449:
	s_add_i32 s6, s6, 1
	s_mul_i32 s6, s6, s14
	v_add_u32_e32 v36, s6, v0
	v_mov_b32_e32 v37, 0
	v_lshlrev_b64 v[36:37], 2, v[36:37]
	v_mov_b32_e32 v1, s1
	v_add_co_u32_e32 v36, vcc, s0, v36
	v_addc_co_u32_e32 v37, vcc, v1, v37, vcc
	global_load_dword v1, v[36:37], off
	s_waitcnt vmcnt(0)
	v_alignbit_b32 v1, v1, v38, 30
	v_and_b32_e32 v36, 7, v1
.LBB13_450:
	s_load_dword s6, s[4:5], 0x48
	s_waitcnt lgkmcnt(0)
	s_ashr_i32 s8, s6, 31
	s_lshr_b32 s8, s8, 27
	s_add_i32 s8, s6, s8
	s_ashr_i32 s12, s8, 5
	s_andn2_b32 s8, s8, 31
	s_sub_i32 s15, s6, s8
	s_cmp_lt_i32 s15, 21
	s_mul_i32 s12, s12, 3
	s_cbranch_scc1 .LBB13_454
; %bb.451:
	s_cmp_eq_u32 s15, 21
	s_cbranch_scc0 .LBB13_455
; %bb.452:
	s_add_i32 s6, s12, 1
	s_mov_b64 s[8:9], 0
	s_mov_b32 s16, 19
	s_branch .LBB13_456
.LBB13_453:
	v_mov_b32_e32 v39, 0
	s_waitcnt vmcnt(0)
	v_lshrrev_b64 v[36:37], s16, v[38:39]
	v_and_b32_e32 v36, 7, v36
	s_cbranch_execz .LBB13_449
	s_branch .LBB13_450
.LBB13_454:
	s_mov_b64 s[8:9], 0
                                        ; implicit-def: $sgpr16
                                        ; implicit-def: $sgpr6
	s_cbranch_execnz .LBB13_457
	s_branch .LBB13_458
.LBB13_455:
	s_mov_b64 s[8:9], -1
                                        ; implicit-def: $sgpr16
                                        ; implicit-def: $sgpr6
.LBB13_456:
	s_branch .LBB13_458
.LBB13_457:
	s_cmp_lg_u32 s15, 10
	s_mov_b32 s16, 19
	s_cselect_b64 s[8:9], -1, 0
	s_mov_b32 s6, s12
.LBB13_458:
	s_andn2_b64 vcc, exec, s[8:9]
	s_cbranch_vccnz .LBB13_465
; %bb.459:
	s_cmp_gt_i32 s15, 21
	s_mul_i32 s10, s15, 3
	s_cbranch_scc1 .LBB13_463
; %bb.460:
	s_cmp_lt_i32 s15, 11
	s_mov_b32 s16, s10
	s_mov_b32 s6, s12
	s_cbranch_scc1 .LBB13_462
; %bb.461:
	s_sub_i32 s16, s10, 32
	s_add_i32 s6, s12, 1
.LBB13_462:
	s_cbranch_execz .LBB13_464
	s_branch .LBB13_465
.LBB13_463:
                                        ; implicit-def: $sgpr16
                                        ; implicit-def: $sgpr6
.LBB13_464:
	s_sub_i32 s16, s10, 64
	s_add_i32 s6, s12, 2
.LBB13_465:
	s_mul_i32 s8, s6, s14
	s_waitcnt vmcnt(0)
	v_add_u32_e32 v38, s8, v0
	v_mov_b32_e32 v39, 0
	v_lshlrev_b64 v[38:39], 2, v[38:39]
	v_mov_b32_e32 v1, s1
	v_add_co_u32_e32 v38, vcc, s0, v38
	v_addc_co_u32_e32 v39, vcc, v1, v39, vcc
	global_load_dword v40, v[38:39], off
	s_cmp_lt_i32 s15, 21
	s_mov_b64 s[8:9], 0
	s_cbranch_scc1 .LBB13_468
; %bb.466:
	s_cmp_eq_u32 s15, 21
	s_cbranch_scc0 .LBB13_469
; %bb.467:
	s_add_i32 s10, s6, 1
	s_mul_i32 s10, s10, s14
	v_add_u32_e32 v38, s10, v0
	v_mov_b32_e32 v39, 0
	v_lshlrev_b64 v[38:39], 2, v[38:39]
	v_mov_b32_e32 v1, s1
	v_add_co_u32_e32 v38, vcc, s0, v38
	v_addc_co_u32_e32 v39, vcc, v1, v39, vcc
	global_load_dword v1, v[38:39], off
	s_mov_b64 s[10:11], 0
	s_waitcnt vmcnt(0)
	v_alignbit_b32 v1, v1, v40, 31
	v_and_b32_e32 v38, 7, v1
	s_branch .LBB13_470
.LBB13_468:
                                        ; implicit-def: $vgpr38_vgpr39
	s_mov_b64 s[10:11], 0
	s_cbranch_execnz .LBB13_471
	s_branch .LBB13_472
.LBB13_469:
	s_mov_b64 s[10:11], -1
                                        ; implicit-def: $vgpr38_vgpr39
.LBB13_470:
	s_branch .LBB13_472
.LBB13_471:
	s_cmp_lg_u32 s15, 10
	s_mov_b64 s[8:9], -1
	s_cselect_b64 s[10:11], -1, 0
                                        ; implicit-def: $vgpr38_vgpr39
.LBB13_472:
	s_andn2_b64 vcc, exec, s[10:11]
	s_cbranch_vccz .LBB13_478
; %bb.473:
	s_andn2_b64 vcc, exec, s[8:9]
	s_cbranch_vccnz .LBB13_475
.LBB13_474:
	s_add_i32 s6, s6, 1
	s_mul_i32 s6, s6, s14
	v_add_u32_e32 v38, s6, v0
	v_mov_b32_e32 v39, 0
	v_lshlrev_b64 v[38:39], 2, v[38:39]
	v_mov_b32_e32 v1, s1
	v_add_co_u32_e32 v38, vcc, s0, v38
	v_addc_co_u32_e32 v39, vcc, v1, v39, vcc
	global_load_dword v1, v[38:39], off
	s_waitcnt vmcnt(0)
	v_alignbit_b32 v1, v1, v40, 30
	v_and_b32_e32 v38, 7, v1
.LBB13_475:
	s_load_dword s6, s[4:5], 0x4c
	s_waitcnt lgkmcnt(0)
	s_ashr_i32 s8, s6, 31
	s_lshr_b32 s8, s8, 27
	s_add_i32 s8, s6, s8
	s_ashr_i32 s12, s8, 5
	s_andn2_b32 s8, s8, 31
	s_sub_i32 s15, s6, s8
	s_cmp_lt_i32 s15, 21
	s_mul_i32 s12, s12, 3
	s_cbranch_scc1 .LBB13_479
; %bb.476:
	s_cmp_eq_u32 s15, 21
	s_cbranch_scc0 .LBB13_480
; %bb.477:
	s_add_i32 s6, s12, 1
	s_mov_b64 s[8:9], 0
	s_mov_b32 s16, 22
	s_branch .LBB13_481
.LBB13_478:
	v_mov_b32_e32 v41, 0
	s_waitcnt vmcnt(0)
	v_lshrrev_b64 v[38:39], s16, v[40:41]
	v_and_b32_e32 v38, 7, v38
	s_cbranch_execz .LBB13_474
	s_branch .LBB13_475
.LBB13_479:
	s_mov_b64 s[8:9], 0
                                        ; implicit-def: $sgpr16
                                        ; implicit-def: $sgpr6
	s_cbranch_execnz .LBB13_482
	s_branch .LBB13_483
.LBB13_480:
	s_mov_b64 s[8:9], -1
                                        ; implicit-def: $sgpr16
                                        ; implicit-def: $sgpr6
.LBB13_481:
	s_branch .LBB13_483
.LBB13_482:
	s_cmp_lg_u32 s15, 10
	s_mov_b32 s16, 22
	s_cselect_b64 s[8:9], -1, 0
	s_mov_b32 s6, s12
.LBB13_483:
	s_andn2_b64 vcc, exec, s[8:9]
	s_cbranch_vccnz .LBB13_490
; %bb.484:
	s_cmp_gt_i32 s15, 21
	s_mul_i32 s10, s15, 3
	s_cbranch_scc1 .LBB13_488
; %bb.485:
	s_cmp_lt_i32 s15, 11
	s_mov_b32 s16, s10
	s_mov_b32 s6, s12
	s_cbranch_scc1 .LBB13_487
; %bb.486:
	s_sub_i32 s16, s10, 32
	s_add_i32 s6, s12, 1
.LBB13_487:
	s_cbranch_execz .LBB13_489
	s_branch .LBB13_490
.LBB13_488:
                                        ; implicit-def: $sgpr16
                                        ; implicit-def: $sgpr6
.LBB13_489:
	s_sub_i32 s16, s10, 64
	s_add_i32 s6, s12, 2
.LBB13_490:
	s_mul_i32 s8, s6, s14
	s_waitcnt vmcnt(0)
	v_add_u32_e32 v40, s8, v0
	v_mov_b32_e32 v41, 0
	v_lshlrev_b64 v[40:41], 2, v[40:41]
	v_mov_b32_e32 v1, s1
	v_add_co_u32_e32 v40, vcc, s0, v40
	v_addc_co_u32_e32 v41, vcc, v1, v41, vcc
	global_load_dword v42, v[40:41], off
	s_cmp_lt_i32 s15, 21
	s_mov_b64 s[8:9], 0
	s_cbranch_scc1 .LBB13_493
; %bb.491:
	s_cmp_eq_u32 s15, 21
	s_cbranch_scc0 .LBB13_494
; %bb.492:
	s_add_i32 s10, s6, 1
	s_mul_i32 s10, s10, s14
	v_add_u32_e32 v40, s10, v0
	v_mov_b32_e32 v41, 0
	v_lshlrev_b64 v[40:41], 2, v[40:41]
	v_mov_b32_e32 v1, s1
	v_add_co_u32_e32 v40, vcc, s0, v40
	v_addc_co_u32_e32 v41, vcc, v1, v41, vcc
	global_load_dword v1, v[40:41], off
	s_mov_b64 s[10:11], 0
	s_waitcnt vmcnt(0)
	v_alignbit_b32 v1, v1, v42, 31
	v_and_b32_e32 v40, 7, v1
	s_branch .LBB13_495
.LBB13_493:
                                        ; implicit-def: $vgpr40_vgpr41
	s_mov_b64 s[10:11], 0
	s_cbranch_execnz .LBB13_496
	s_branch .LBB13_497
.LBB13_494:
	s_mov_b64 s[10:11], -1
                                        ; implicit-def: $vgpr40_vgpr41
.LBB13_495:
	s_branch .LBB13_497
.LBB13_496:
	s_cmp_lg_u32 s15, 10
	s_mov_b64 s[8:9], -1
	s_cselect_b64 s[10:11], -1, 0
                                        ; implicit-def: $vgpr40_vgpr41
.LBB13_497:
	s_andn2_b64 vcc, exec, s[10:11]
	s_cbranch_vccz .LBB13_503
; %bb.498:
	s_andn2_b64 vcc, exec, s[8:9]
	s_cbranch_vccnz .LBB13_500
.LBB13_499:
	s_add_i32 s6, s6, 1
	s_mul_i32 s6, s6, s14
	v_add_u32_e32 v40, s6, v0
	v_mov_b32_e32 v41, 0
	v_lshlrev_b64 v[40:41], 2, v[40:41]
	v_mov_b32_e32 v1, s1
	v_add_co_u32_e32 v40, vcc, s0, v40
	v_addc_co_u32_e32 v41, vcc, v1, v41, vcc
	global_load_dword v1, v[40:41], off
	s_waitcnt vmcnt(0)
	v_alignbit_b32 v1, v1, v42, 30
	v_and_b32_e32 v40, 7, v1
.LBB13_500:
	s_load_dword s6, s[4:5], 0x50
	s_waitcnt lgkmcnt(0)
	s_ashr_i32 s8, s6, 31
	s_lshr_b32 s8, s8, 27
	s_add_i32 s8, s6, s8
	s_ashr_i32 s12, s8, 5
	s_andn2_b32 s8, s8, 31
	s_sub_i32 s15, s6, s8
	s_cmp_lt_i32 s15, 21
	s_mul_i32 s12, s12, 3
	s_cbranch_scc1 .LBB13_504
; %bb.501:
	s_cmp_eq_u32 s15, 21
	s_cbranch_scc0 .LBB13_505
; %bb.502:
	s_add_i32 s6, s12, 1
	s_mov_b64 s[8:9], 0
	s_mov_b32 s16, 25
	s_branch .LBB13_506
.LBB13_503:
	v_mov_b32_e32 v43, 0
	s_waitcnt vmcnt(0)
	v_lshrrev_b64 v[40:41], s16, v[42:43]
	v_and_b32_e32 v40, 7, v40
	s_cbranch_execz .LBB13_499
	s_branch .LBB13_500
.LBB13_504:
	s_mov_b64 s[8:9], 0
                                        ; implicit-def: $sgpr16
                                        ; implicit-def: $sgpr6
	s_cbranch_execnz .LBB13_507
	s_branch .LBB13_508
.LBB13_505:
	s_mov_b64 s[8:9], -1
                                        ; implicit-def: $sgpr16
                                        ; implicit-def: $sgpr6
.LBB13_506:
	s_branch .LBB13_508
.LBB13_507:
	s_cmp_lg_u32 s15, 10
	s_mov_b32 s16, 25
	s_cselect_b64 s[8:9], -1, 0
	s_mov_b32 s6, s12
.LBB13_508:
	s_andn2_b64 vcc, exec, s[8:9]
	s_cbranch_vccnz .LBB13_515
; %bb.509:
	s_cmp_gt_i32 s15, 21
	s_mul_i32 s10, s15, 3
	s_cbranch_scc1 .LBB13_513
; %bb.510:
	s_cmp_lt_i32 s15, 11
	s_mov_b32 s16, s10
	s_mov_b32 s6, s12
	s_cbranch_scc1 .LBB13_512
; %bb.511:
	s_sub_i32 s16, s10, 32
	s_add_i32 s6, s12, 1
.LBB13_512:
	s_cbranch_execz .LBB13_514
	s_branch .LBB13_515
.LBB13_513:
                                        ; implicit-def: $sgpr16
                                        ; implicit-def: $sgpr6
.LBB13_514:
	s_sub_i32 s16, s10, 64
	s_add_i32 s6, s12, 2
.LBB13_515:
	s_mul_i32 s8, s6, s14
	s_waitcnt vmcnt(0)
	v_add_u32_e32 v42, s8, v0
	v_mov_b32_e32 v43, 0
	v_lshlrev_b64 v[42:43], 2, v[42:43]
	v_mov_b32_e32 v1, s1
	v_add_co_u32_e32 v42, vcc, s0, v42
	v_addc_co_u32_e32 v43, vcc, v1, v43, vcc
	global_load_dword v44, v[42:43], off
	s_cmp_lt_i32 s15, 21
	s_mov_b64 s[8:9], 0
	s_cbranch_scc1 .LBB13_518
; %bb.516:
	s_cmp_eq_u32 s15, 21
	s_cbranch_scc0 .LBB13_519
; %bb.517:
	s_add_i32 s10, s6, 1
	s_mul_i32 s10, s10, s14
	v_add_u32_e32 v42, s10, v0
	v_mov_b32_e32 v43, 0
	v_lshlrev_b64 v[42:43], 2, v[42:43]
	v_mov_b32_e32 v1, s1
	v_add_co_u32_e32 v42, vcc, s0, v42
	v_addc_co_u32_e32 v43, vcc, v1, v43, vcc
	global_load_dword v1, v[42:43], off
	s_mov_b64 s[10:11], 0
	s_waitcnt vmcnt(0)
	v_alignbit_b32 v1, v1, v44, 31
	v_and_b32_e32 v42, 7, v1
	s_branch .LBB13_520
.LBB13_518:
                                        ; implicit-def: $vgpr42_vgpr43
	s_mov_b64 s[10:11], 0
	s_cbranch_execnz .LBB13_521
	s_branch .LBB13_522
.LBB13_519:
	s_mov_b64 s[10:11], -1
                                        ; implicit-def: $vgpr42_vgpr43
.LBB13_520:
	s_branch .LBB13_522
.LBB13_521:
	s_cmp_lg_u32 s15, 10
	s_mov_b64 s[8:9], -1
	s_cselect_b64 s[10:11], -1, 0
                                        ; implicit-def: $vgpr42_vgpr43
.LBB13_522:
	s_andn2_b64 vcc, exec, s[10:11]
	s_cbranch_vccz .LBB13_528
; %bb.523:
	s_andn2_b64 vcc, exec, s[8:9]
	s_cbranch_vccnz .LBB13_525
.LBB13_524:
	s_add_i32 s6, s6, 1
	s_mul_i32 s6, s6, s14
	v_add_u32_e32 v42, s6, v0
	v_mov_b32_e32 v43, 0
	v_lshlrev_b64 v[42:43], 2, v[42:43]
	v_mov_b32_e32 v1, s1
	v_add_co_u32_e32 v42, vcc, s0, v42
	v_addc_co_u32_e32 v43, vcc, v1, v43, vcc
	global_load_dword v1, v[42:43], off
	s_waitcnt vmcnt(0)
	v_alignbit_b32 v1, v1, v44, 30
	v_and_b32_e32 v42, 7, v1
.LBB13_525:
	s_load_dword s6, s[4:5], 0x54
	s_waitcnt lgkmcnt(0)
	s_ashr_i32 s8, s6, 31
	s_lshr_b32 s8, s8, 27
	s_add_i32 s8, s6, s8
	s_ashr_i32 s12, s8, 5
	s_andn2_b32 s8, s8, 31
	s_sub_i32 s16, s6, s8
	s_cmp_lt_i32 s16, 21
	s_mul_i32 s12, s12, 3
	s_cbranch_scc1 .LBB13_529
; %bb.526:
	s_cmp_eq_u32 s16, 21
	s_cbranch_scc0 .LBB13_530
; %bb.527:
	s_add_i32 s15, s12, 1
	s_mov_b64 s[8:9], 0
	s_mov_b32 s6, 28
	s_branch .LBB13_531
.LBB13_528:
	v_mov_b32_e32 v45, 0
	s_waitcnt vmcnt(0)
	v_lshrrev_b64 v[42:43], s16, v[44:45]
	v_and_b32_e32 v42, 7, v42
	s_cbranch_execz .LBB13_524
	s_branch .LBB13_525
.LBB13_529:
	s_mov_b64 s[8:9], 0
                                        ; implicit-def: $sgpr6
                                        ; implicit-def: $sgpr15
	s_cbranch_execnz .LBB13_532
	s_branch .LBB13_533
.LBB13_530:
	s_mov_b64 s[8:9], -1
                                        ; implicit-def: $sgpr6
                                        ; implicit-def: $sgpr15
.LBB13_531:
	s_branch .LBB13_533
.LBB13_532:
	s_cmp_lg_u32 s16, 10
	s_mov_b32 s6, 28
	s_cselect_b64 s[8:9], -1, 0
	s_mov_b32 s15, s12
.LBB13_533:
	s_andn2_b64 vcc, exec, s[8:9]
	s_cbranch_vccnz .LBB13_540
; %bb.534:
	s_cmp_gt_i32 s16, 21
	s_mul_i32 s10, s16, 3
	s_cbranch_scc1 .LBB13_538
; %bb.535:
	s_cmp_lt_i32 s16, 11
	s_mov_b32 s6, s10
	s_mov_b32 s15, s12
	s_cbranch_scc1 .LBB13_537
; %bb.536:
	s_sub_i32 s6, s10, 32
	s_add_i32 s15, s12, 1
.LBB13_537:
	s_cbranch_execz .LBB13_539
	s_branch .LBB13_540
.LBB13_538:
                                        ; implicit-def: $sgpr6
                                        ; implicit-def: $sgpr15
.LBB13_539:
	s_sub_i32 s6, s10, 64
	s_add_i32 s15, s12, 2
.LBB13_540:
	s_mul_i32 s8, s15, s14
	s_waitcnt vmcnt(0)
	v_add_u32_e32 v44, s8, v0
	v_mov_b32_e32 v45, 0
	v_lshlrev_b64 v[44:45], 2, v[44:45]
	v_mov_b32_e32 v1, s1
	v_add_co_u32_e32 v44, vcc, s0, v44
	v_addc_co_u32_e32 v45, vcc, v1, v45, vcc
	global_load_dword v46, v[44:45], off
	s_cmp_lt_i32 s16, 21
	s_mov_b64 s[8:9], 0
	s_cbranch_scc1 .LBB13_543
; %bb.541:
	s_cmp_eq_u32 s16, 21
	s_cbranch_scc0 .LBB13_544
; %bb.542:
	s_add_i32 s10, s15, 1
	s_mul_i32 s10, s10, s14
	v_add_u32_e32 v44, s10, v0
	v_mov_b32_e32 v45, 0
	v_lshlrev_b64 v[44:45], 2, v[44:45]
	v_mov_b32_e32 v1, s1
	v_add_co_u32_e32 v44, vcc, s0, v44
	v_addc_co_u32_e32 v45, vcc, v1, v45, vcc
	global_load_dword v1, v[44:45], off
	s_mov_b64 s[10:11], 0
	s_waitcnt vmcnt(0)
	v_alignbit_b32 v1, v1, v46, 31
	v_and_b32_e32 v44, 7, v1
	s_branch .LBB13_545
.LBB13_543:
                                        ; implicit-def: $vgpr44_vgpr45
	s_mov_b64 s[10:11], 0
	s_cbranch_execnz .LBB13_546
	s_branch .LBB13_547
.LBB13_544:
	s_mov_b64 s[10:11], -1
                                        ; implicit-def: $vgpr44_vgpr45
.LBB13_545:
	s_branch .LBB13_547
.LBB13_546:
	s_cmp_lg_u32 s16, 10
	s_mov_b64 s[8:9], -1
	s_cselect_b64 s[10:11], -1, 0
                                        ; implicit-def: $vgpr44_vgpr45
.LBB13_547:
	s_andn2_b64 vcc, exec, s[10:11]
	s_cbranch_vccz .LBB13_553
; %bb.548:
	s_andn2_b64 vcc, exec, s[8:9]
	s_cbranch_vccnz .LBB13_550
.LBB13_549:
	s_add_i32 s8, s15, 1
	s_mul_i32 s8, s8, s14
	v_add_u32_e32 v44, s8, v0
	v_mov_b32_e32 v45, 0
	v_lshlrev_b64 v[44:45], 2, v[44:45]
	v_mov_b32_e32 v1, s1
	v_add_co_u32_e32 v44, vcc, s0, v44
	v_addc_co_u32_e32 v45, vcc, v1, v45, vcc
	global_load_dword v1, v[44:45], off
	s_waitcnt vmcnt(0)
	v_alignbit_b32 v1, v1, v46, 30
	v_and_b32_e32 v44, 7, v1
.LBB13_550:
	s_load_dword s8, s[4:5], 0x58
	s_waitcnt lgkmcnt(0)
	s_ashr_i32 s9, s8, 31
	s_lshr_b32 s9, s9, 27
	s_add_i32 s9, s8, s9
	s_ashr_i32 s12, s9, 5
	s_andn2_b32 s9, s9, 31
	s_sub_i32 s16, s8, s9
	s_cmp_lt_i32 s16, 21
	s_mul_i32 s12, s12, 3
	s_cbranch_scc1 .LBB13_554
; %bb.551:
	s_cmp_eq_u32 s16, 21
	s_cbranch_scc0 .LBB13_555
; %bb.552:
	s_add_i32 s15, s12, 1
	s_mov_b64 s[8:9], 0
	s_branch .LBB13_556
.LBB13_553:
	v_mov_b32_e32 v47, 0
	s_waitcnt vmcnt(0)
	v_lshrrev_b64 v[44:45], s6, v[46:47]
	v_and_b32_e32 v44, 7, v44
	s_cbranch_execz .LBB13_549
	s_branch .LBB13_550
.LBB13_554:
	s_mov_b64 s[8:9], 0
                                        ; implicit-def: $sgpr15
	s_cbranch_execnz .LBB13_557
	s_branch .LBB13_558
.LBB13_555:
	s_mov_b64 s[8:9], -1
                                        ; implicit-def: $sgpr15
.LBB13_556:
	s_branch .LBB13_558
.LBB13_557:
	s_cmp_lg_u32 s16, 10
	s_cselect_b64 s[8:9], -1, 0
	s_mov_b32 s15, s12
.LBB13_558:
	s_andn2_b64 vcc, exec, s[8:9]
	s_cbranch_vccnz .LBB13_565
; %bb.559:
	s_cmp_gt_i32 s16, 21
	s_mul_i32 s10, s16, 3
	s_cbranch_scc1 .LBB13_563
; %bb.560:
	s_cmp_lt_i32 s16, 11
	s_mov_b32 s6, s10
	s_mov_b32 s15, s12
	s_cbranch_scc1 .LBB13_562
; %bb.561:
	s_sub_i32 s6, s10, 32
	s_add_i32 s15, s12, 1
.LBB13_562:
	s_cbranch_execz .LBB13_564
	s_branch .LBB13_565
.LBB13_563:
                                        ; implicit-def: $sgpr6
                                        ; implicit-def: $sgpr15
.LBB13_564:
	s_sub_i32 s6, s10, 64
	s_add_i32 s15, s12, 2
.LBB13_565:
	s_mul_i32 s8, s15, s14
	s_waitcnt vmcnt(0)
	v_add_u32_e32 v46, s8, v0
	v_mov_b32_e32 v47, 0
	v_lshlrev_b64 v[46:47], 2, v[46:47]
	v_mov_b32_e32 v1, s1
	v_add_co_u32_e32 v46, vcc, s0, v46
	v_addc_co_u32_e32 v47, vcc, v1, v47, vcc
	global_load_dword v48, v[46:47], off
	s_cmp_lt_i32 s16, 21
	s_mov_b64 s[8:9], 0
	s_cbranch_scc1 .LBB13_568
; %bb.566:
	s_cmp_eq_u32 s16, 21
	s_cbranch_scc0 .LBB13_569
; %bb.567:
	s_add_i32 s10, s15, 1
	s_mul_i32 s10, s10, s14
	v_add_u32_e32 v46, s10, v0
	v_mov_b32_e32 v47, 0
	v_lshlrev_b64 v[46:47], 2, v[46:47]
	v_mov_b32_e32 v1, s1
	v_add_co_u32_e32 v46, vcc, s0, v46
	v_addc_co_u32_e32 v47, vcc, v1, v47, vcc
	global_load_dword v1, v[46:47], off
	s_mov_b64 s[10:11], 0
	s_waitcnt vmcnt(0)
	v_alignbit_b32 v1, v1, v48, 31
	v_and_b32_e32 v46, 7, v1
	s_branch .LBB13_570
.LBB13_568:
                                        ; implicit-def: $vgpr46_vgpr47
	s_mov_b64 s[10:11], 0
	s_cbranch_execnz .LBB13_571
	s_branch .LBB13_572
.LBB13_569:
	s_mov_b64 s[10:11], -1
                                        ; implicit-def: $vgpr46_vgpr47
.LBB13_570:
	s_branch .LBB13_572
.LBB13_571:
	s_cmp_lg_u32 s16, 10
	s_mov_b64 s[8:9], -1
	s_cselect_b64 s[10:11], -1, 0
                                        ; implicit-def: $vgpr46_vgpr47
.LBB13_572:
	s_andn2_b64 vcc, exec, s[10:11]
	s_cbranch_vccz .LBB13_578
; %bb.573:
	s_andn2_b64 vcc, exec, s[8:9]
	s_cbranch_vccnz .LBB13_575
.LBB13_574:
	s_add_i32 s6, s15, 1
	s_mul_i32 s6, s6, s14
	v_add_u32_e32 v46, s6, v0
	v_mov_b32_e32 v47, 0
	v_lshlrev_b64 v[46:47], 2, v[46:47]
	v_mov_b32_e32 v1, s1
	v_add_co_u32_e32 v46, vcc, s0, v46
	v_addc_co_u32_e32 v47, vcc, v1, v47, vcc
	global_load_dword v1, v[46:47], off
	s_waitcnt vmcnt(0)
	v_alignbit_b32 v1, v1, v48, 30
	v_and_b32_e32 v46, 7, v1
.LBB13_575:
	s_load_dword s6, s[4:5], 0x5c
	s_waitcnt lgkmcnt(0)
	s_ashr_i32 s8, s6, 31
	s_lshr_b32 s8, s8, 27
	s_add_i32 s8, s6, s8
	s_ashr_i32 s12, s8, 5
	s_andn2_b32 s8, s8, 31
	s_sub_i32 s15, s6, s8
	s_cmp_lt_i32 s15, 21
	s_mul_i32 s12, s12, 3
	s_cbranch_scc1 .LBB13_579
; %bb.576:
	s_cmp_eq_u32 s15, 21
	s_cbranch_scc0 .LBB13_580
; %bb.577:
	s_add_i32 s6, s12, 1
	s_mov_b64 s[8:9], 0
	s_mov_b32 s16, 2
	s_branch .LBB13_581
.LBB13_578:
	v_mov_b32_e32 v49, 0
	s_waitcnt vmcnt(0)
	v_lshrrev_b64 v[46:47], s6, v[48:49]
	v_and_b32_e32 v46, 7, v46
	s_cbranch_execz .LBB13_574
	s_branch .LBB13_575
.LBB13_579:
	s_mov_b64 s[8:9], 0
                                        ; implicit-def: $sgpr16
                                        ; implicit-def: $sgpr6
	s_cbranch_execnz .LBB13_582
	s_branch .LBB13_583
.LBB13_580:
	s_mov_b64 s[8:9], -1
                                        ; implicit-def: $sgpr16
                                        ; implicit-def: $sgpr6
.LBB13_581:
	s_branch .LBB13_583
.LBB13_582:
	s_cmp_lg_u32 s15, 10
	s_mov_b32 s16, 2
	s_cselect_b64 s[8:9], -1, 0
	s_mov_b32 s6, s12
.LBB13_583:
	s_andn2_b64 vcc, exec, s[8:9]
	s_cbranch_vccnz .LBB13_590
; %bb.584:
	s_cmp_gt_i32 s15, 21
	s_mul_i32 s10, s15, 3
	s_cbranch_scc1 .LBB13_588
; %bb.585:
	s_cmp_lt_i32 s15, 11
	s_mov_b32 s16, s10
	s_mov_b32 s6, s12
	s_cbranch_scc1 .LBB13_587
; %bb.586:
	s_sub_i32 s16, s10, 32
	s_add_i32 s6, s12, 1
.LBB13_587:
	s_cbranch_execz .LBB13_589
	s_branch .LBB13_590
.LBB13_588:
                                        ; implicit-def: $sgpr16
                                        ; implicit-def: $sgpr6
.LBB13_589:
	s_sub_i32 s16, s10, 64
	s_add_i32 s6, s12, 2
.LBB13_590:
	s_mul_i32 s8, s6, s14
	s_waitcnt vmcnt(0)
	v_add_u32_e32 v48, s8, v0
	v_mov_b32_e32 v49, 0
	v_lshlrev_b64 v[48:49], 2, v[48:49]
	v_mov_b32_e32 v1, s1
	v_add_co_u32_e32 v48, vcc, s0, v48
	v_addc_co_u32_e32 v49, vcc, v1, v49, vcc
	global_load_dword v50, v[48:49], off
	s_cmp_lt_i32 s15, 21
	s_mov_b64 s[8:9], 0
	s_cbranch_scc1 .LBB13_593
; %bb.591:
	s_cmp_eq_u32 s15, 21
	s_cbranch_scc0 .LBB13_594
; %bb.592:
	s_add_i32 s10, s6, 1
	s_mul_i32 s10, s10, s14
	v_add_u32_e32 v48, s10, v0
	v_mov_b32_e32 v49, 0
	v_lshlrev_b64 v[48:49], 2, v[48:49]
	v_mov_b32_e32 v1, s1
	v_add_co_u32_e32 v48, vcc, s0, v48
	v_addc_co_u32_e32 v49, vcc, v1, v49, vcc
	global_load_dword v1, v[48:49], off
	s_mov_b64 s[10:11], 0
	s_waitcnt vmcnt(0)
	v_alignbit_b32 v1, v1, v50, 31
	v_and_b32_e32 v48, 7, v1
	s_branch .LBB13_595
.LBB13_593:
                                        ; implicit-def: $vgpr48_vgpr49
	s_mov_b64 s[10:11], 0
	s_cbranch_execnz .LBB13_596
	s_branch .LBB13_597
.LBB13_594:
	s_mov_b64 s[10:11], -1
                                        ; implicit-def: $vgpr48_vgpr49
.LBB13_595:
	s_branch .LBB13_597
.LBB13_596:
	s_cmp_lg_u32 s15, 10
	s_mov_b64 s[8:9], -1
	s_cselect_b64 s[10:11], -1, 0
                                        ; implicit-def: $vgpr48_vgpr49
.LBB13_597:
	s_andn2_b64 vcc, exec, s[10:11]
	s_cbranch_vccz .LBB13_603
; %bb.598:
	s_andn2_b64 vcc, exec, s[8:9]
	s_cbranch_vccnz .LBB13_600
.LBB13_599:
	s_add_i32 s6, s6, 1
	s_mul_i32 s6, s6, s14
	v_add_u32_e32 v48, s6, v0
	v_mov_b32_e32 v49, 0
	v_lshlrev_b64 v[48:49], 2, v[48:49]
	v_mov_b32_e32 v1, s1
	v_add_co_u32_e32 v48, vcc, s0, v48
	v_addc_co_u32_e32 v49, vcc, v1, v49, vcc
	global_load_dword v1, v[48:49], off
	s_waitcnt vmcnt(0)
	v_alignbit_b32 v1, v1, v50, 30
	v_and_b32_e32 v48, 7, v1
.LBB13_600:
	s_load_dword s6, s[4:5], 0x60
	s_waitcnt lgkmcnt(0)
	s_ashr_i32 s8, s6, 31
	s_lshr_b32 s8, s8, 27
	s_add_i32 s8, s6, s8
	s_ashr_i32 s12, s8, 5
	s_andn2_b32 s8, s8, 31
	s_sub_i32 s15, s6, s8
	s_cmp_lt_i32 s15, 21
	s_mul_i32 s12, s12, 3
	s_cbranch_scc1 .LBB13_604
; %bb.601:
	s_cmp_eq_u32 s15, 21
	s_cbranch_scc0 .LBB13_605
; %bb.602:
	s_add_i32 s6, s12, 1
	s_mov_b64 s[8:9], 0
	s_mov_b32 s16, 5
	s_branch .LBB13_606
.LBB13_603:
	v_mov_b32_e32 v51, 0
	s_waitcnt vmcnt(0)
	v_lshrrev_b64 v[48:49], s16, v[50:51]
	v_and_b32_e32 v48, 7, v48
	s_cbranch_execz .LBB13_599
	s_branch .LBB13_600
.LBB13_604:
	s_mov_b64 s[8:9], 0
                                        ; implicit-def: $sgpr16
                                        ; implicit-def: $sgpr6
	s_cbranch_execnz .LBB13_607
	s_branch .LBB13_608
.LBB13_605:
	s_mov_b64 s[8:9], -1
                                        ; implicit-def: $sgpr16
                                        ; implicit-def: $sgpr6
.LBB13_606:
	s_branch .LBB13_608
.LBB13_607:
	s_cmp_lg_u32 s15, 10
	s_mov_b32 s16, 5
	s_cselect_b64 s[8:9], -1, 0
	s_mov_b32 s6, s12
.LBB13_608:
	s_andn2_b64 vcc, exec, s[8:9]
	s_cbranch_vccnz .LBB13_615
; %bb.609:
	s_cmp_gt_i32 s15, 21
	s_mul_i32 s10, s15, 3
	s_cbranch_scc1 .LBB13_613
; %bb.610:
	s_cmp_lt_i32 s15, 11
	s_mov_b32 s16, s10
	s_mov_b32 s6, s12
	s_cbranch_scc1 .LBB13_612
; %bb.611:
	s_sub_i32 s16, s10, 32
	s_add_i32 s6, s12, 1
.LBB13_612:
	s_cbranch_execz .LBB13_614
	s_branch .LBB13_615
.LBB13_613:
                                        ; implicit-def: $sgpr16
                                        ; implicit-def: $sgpr6
.LBB13_614:
	s_sub_i32 s16, s10, 64
	s_add_i32 s6, s12, 2
.LBB13_615:
	s_mul_i32 s8, s6, s14
	s_waitcnt vmcnt(0)
	v_add_u32_e32 v50, s8, v0
	v_mov_b32_e32 v51, 0
	v_lshlrev_b64 v[50:51], 2, v[50:51]
	v_mov_b32_e32 v1, s1
	v_add_co_u32_e32 v50, vcc, s0, v50
	v_addc_co_u32_e32 v51, vcc, v1, v51, vcc
	global_load_dword v52, v[50:51], off
	s_cmp_lt_i32 s15, 21
	s_mov_b64 s[8:9], 0
	s_cbranch_scc1 .LBB13_618
; %bb.616:
	s_cmp_eq_u32 s15, 21
	s_cbranch_scc0 .LBB13_619
; %bb.617:
	s_add_i32 s10, s6, 1
	s_mul_i32 s10, s10, s14
	v_add_u32_e32 v50, s10, v0
	v_mov_b32_e32 v51, 0
	v_lshlrev_b64 v[50:51], 2, v[50:51]
	v_mov_b32_e32 v1, s1
	v_add_co_u32_e32 v50, vcc, s0, v50
	v_addc_co_u32_e32 v51, vcc, v1, v51, vcc
	global_load_dword v1, v[50:51], off
	s_mov_b64 s[10:11], 0
	s_waitcnt vmcnt(0)
	v_alignbit_b32 v1, v1, v52, 31
	v_and_b32_e32 v50, 7, v1
	s_branch .LBB13_620
.LBB13_618:
                                        ; implicit-def: $vgpr50_vgpr51
	s_mov_b64 s[10:11], 0
	s_cbranch_execnz .LBB13_621
	s_branch .LBB13_622
.LBB13_619:
	s_mov_b64 s[10:11], -1
                                        ; implicit-def: $vgpr50_vgpr51
.LBB13_620:
	s_branch .LBB13_622
.LBB13_621:
	s_cmp_lg_u32 s15, 10
	s_mov_b64 s[8:9], -1
	s_cselect_b64 s[10:11], -1, 0
                                        ; implicit-def: $vgpr50_vgpr51
.LBB13_622:
	s_andn2_b64 vcc, exec, s[10:11]
	s_cbranch_vccz .LBB13_628
; %bb.623:
	s_andn2_b64 vcc, exec, s[8:9]
	s_cbranch_vccnz .LBB13_625
.LBB13_624:
	s_add_i32 s6, s6, 1
	s_mul_i32 s6, s6, s14
	v_add_u32_e32 v50, s6, v0
	v_mov_b32_e32 v51, 0
	v_lshlrev_b64 v[50:51], 2, v[50:51]
	v_mov_b32_e32 v1, s1
	v_add_co_u32_e32 v50, vcc, s0, v50
	v_addc_co_u32_e32 v51, vcc, v1, v51, vcc
	global_load_dword v1, v[50:51], off
	s_waitcnt vmcnt(0)
	v_alignbit_b32 v1, v1, v52, 30
	v_and_b32_e32 v50, 7, v1
.LBB13_625:
	s_load_dword s6, s[4:5], 0x64
	s_waitcnt lgkmcnt(0)
	s_ashr_i32 s8, s6, 31
	s_lshr_b32 s8, s8, 27
	s_add_i32 s8, s6, s8
	s_ashr_i32 s12, s8, 5
	s_andn2_b32 s8, s8, 31
	s_sub_i32 s15, s6, s8
	s_cmp_lt_i32 s15, 21
	s_mul_i32 s12, s12, 3
	s_cbranch_scc1 .LBB13_629
; %bb.626:
	s_cmp_eq_u32 s15, 21
	s_cbranch_scc0 .LBB13_630
; %bb.627:
	s_add_i32 s6, s12, 1
	s_mov_b64 s[8:9], 0
	s_mov_b32 s16, 8
	s_branch .LBB13_631
.LBB13_628:
	v_mov_b32_e32 v53, 0
	s_waitcnt vmcnt(0)
	v_lshrrev_b64 v[50:51], s16, v[52:53]
	v_and_b32_e32 v50, 7, v50
	s_cbranch_execz .LBB13_624
	s_branch .LBB13_625
.LBB13_629:
	s_mov_b64 s[8:9], 0
                                        ; implicit-def: $sgpr16
                                        ; implicit-def: $sgpr6
	s_cbranch_execnz .LBB13_632
	s_branch .LBB13_633
.LBB13_630:
	s_mov_b64 s[8:9], -1
                                        ; implicit-def: $sgpr16
                                        ; implicit-def: $sgpr6
.LBB13_631:
	s_branch .LBB13_633
.LBB13_632:
	s_cmp_lg_u32 s15, 10
	s_mov_b32 s16, 8
	s_cselect_b64 s[8:9], -1, 0
	s_mov_b32 s6, s12
.LBB13_633:
	s_andn2_b64 vcc, exec, s[8:9]
	s_cbranch_vccnz .LBB13_640
; %bb.634:
	s_cmp_gt_i32 s15, 21
	s_mul_i32 s10, s15, 3
	s_cbranch_scc1 .LBB13_638
; %bb.635:
	s_cmp_lt_i32 s15, 11
	s_mov_b32 s16, s10
	s_mov_b32 s6, s12
	s_cbranch_scc1 .LBB13_637
; %bb.636:
	s_sub_i32 s16, s10, 32
	s_add_i32 s6, s12, 1
.LBB13_637:
	s_cbranch_execz .LBB13_639
	s_branch .LBB13_640
.LBB13_638:
                                        ; implicit-def: $sgpr16
                                        ; implicit-def: $sgpr6
.LBB13_639:
	s_sub_i32 s16, s10, 64
	s_add_i32 s6, s12, 2
.LBB13_640:
	s_mul_i32 s8, s6, s14
	s_waitcnt vmcnt(0)
	v_add_u32_e32 v52, s8, v0
	v_mov_b32_e32 v53, 0
	v_lshlrev_b64 v[52:53], 2, v[52:53]
	v_mov_b32_e32 v1, s1
	v_add_co_u32_e32 v52, vcc, s0, v52
	v_addc_co_u32_e32 v53, vcc, v1, v53, vcc
	global_load_dword v54, v[52:53], off
	s_cmp_lt_i32 s15, 21
	s_mov_b64 s[8:9], 0
	s_cbranch_scc1 .LBB13_643
; %bb.641:
	s_cmp_eq_u32 s15, 21
	s_cbranch_scc0 .LBB13_644
; %bb.642:
	s_add_i32 s10, s6, 1
	s_mul_i32 s10, s10, s14
	v_add_u32_e32 v52, s10, v0
	v_mov_b32_e32 v53, 0
	v_lshlrev_b64 v[52:53], 2, v[52:53]
	v_mov_b32_e32 v1, s1
	v_add_co_u32_e32 v52, vcc, s0, v52
	v_addc_co_u32_e32 v53, vcc, v1, v53, vcc
	global_load_dword v1, v[52:53], off
	s_mov_b64 s[10:11], 0
	s_waitcnt vmcnt(0)
	v_alignbit_b32 v1, v1, v54, 31
	v_and_b32_e32 v52, 7, v1
	s_branch .LBB13_645
.LBB13_643:
                                        ; implicit-def: $vgpr52_vgpr53
	s_mov_b64 s[10:11], 0
	s_cbranch_execnz .LBB13_646
	s_branch .LBB13_647
.LBB13_644:
	s_mov_b64 s[10:11], -1
                                        ; implicit-def: $vgpr52_vgpr53
.LBB13_645:
	s_branch .LBB13_647
.LBB13_646:
	s_cmp_lg_u32 s15, 10
	s_mov_b64 s[8:9], -1
	s_cselect_b64 s[10:11], -1, 0
                                        ; implicit-def: $vgpr52_vgpr53
.LBB13_647:
	s_andn2_b64 vcc, exec, s[10:11]
	s_cbranch_vccz .LBB13_653
; %bb.648:
	s_andn2_b64 vcc, exec, s[8:9]
	s_cbranch_vccnz .LBB13_650
.LBB13_649:
	s_add_i32 s6, s6, 1
	s_mul_i32 s6, s6, s14
	v_add_u32_e32 v52, s6, v0
	v_mov_b32_e32 v53, 0
	v_lshlrev_b64 v[52:53], 2, v[52:53]
	v_mov_b32_e32 v1, s1
	v_add_co_u32_e32 v52, vcc, s0, v52
	v_addc_co_u32_e32 v53, vcc, v1, v53, vcc
	global_load_dword v1, v[52:53], off
	s_waitcnt vmcnt(0)
	v_alignbit_b32 v1, v1, v54, 30
	v_and_b32_e32 v52, 7, v1
.LBB13_650:
	s_load_dword s6, s[4:5], 0x68
	s_waitcnt lgkmcnt(0)
	s_ashr_i32 s8, s6, 31
	s_lshr_b32 s8, s8, 27
	s_add_i32 s8, s6, s8
	s_ashr_i32 s12, s8, 5
	s_andn2_b32 s8, s8, 31
	s_sub_i32 s15, s6, s8
	s_cmp_lt_i32 s15, 21
	s_mul_i32 s12, s12, 3
	s_cbranch_scc1 .LBB13_654
; %bb.651:
	s_cmp_eq_u32 s15, 21
	s_cbranch_scc0 .LBB13_655
; %bb.652:
	s_add_i32 s6, s12, 1
	s_mov_b64 s[8:9], 0
	s_mov_b32 s16, 11
	s_branch .LBB13_656
.LBB13_653:
	v_mov_b32_e32 v55, 0
	s_waitcnt vmcnt(0)
	v_lshrrev_b64 v[52:53], s16, v[54:55]
	v_and_b32_e32 v52, 7, v52
	s_cbranch_execz .LBB13_649
	s_branch .LBB13_650
.LBB13_654:
	s_mov_b64 s[8:9], 0
                                        ; implicit-def: $sgpr16
                                        ; implicit-def: $sgpr6
	s_cbranch_execnz .LBB13_657
	s_branch .LBB13_658
.LBB13_655:
	s_mov_b64 s[8:9], -1
                                        ; implicit-def: $sgpr16
                                        ; implicit-def: $sgpr6
.LBB13_656:
	s_branch .LBB13_658
.LBB13_657:
	s_cmp_lg_u32 s15, 10
	s_mov_b32 s16, 11
	s_cselect_b64 s[8:9], -1, 0
	s_mov_b32 s6, s12
.LBB13_658:
	s_andn2_b64 vcc, exec, s[8:9]
	s_cbranch_vccnz .LBB13_665
; %bb.659:
	s_cmp_gt_i32 s15, 21
	s_mul_i32 s10, s15, 3
	s_cbranch_scc1 .LBB13_663
; %bb.660:
	s_cmp_lt_i32 s15, 11
	s_mov_b32 s16, s10
	s_mov_b32 s6, s12
	s_cbranch_scc1 .LBB13_662
; %bb.661:
	s_sub_i32 s16, s10, 32
	s_add_i32 s6, s12, 1
.LBB13_662:
	s_cbranch_execz .LBB13_664
	s_branch .LBB13_665
.LBB13_663:
                                        ; implicit-def: $sgpr16
                                        ; implicit-def: $sgpr6
.LBB13_664:
	s_sub_i32 s16, s10, 64
	s_add_i32 s6, s12, 2
.LBB13_665:
	s_mul_i32 s8, s6, s14
	s_waitcnt vmcnt(0)
	v_add_u32_e32 v54, s8, v0
	v_mov_b32_e32 v55, 0
	v_lshlrev_b64 v[54:55], 2, v[54:55]
	v_mov_b32_e32 v1, s1
	v_add_co_u32_e32 v54, vcc, s0, v54
	v_addc_co_u32_e32 v55, vcc, v1, v55, vcc
	global_load_dword v56, v[54:55], off
	s_cmp_lt_i32 s15, 21
	s_mov_b64 s[8:9], 0
	s_cbranch_scc1 .LBB13_668
; %bb.666:
	s_cmp_eq_u32 s15, 21
	s_cbranch_scc0 .LBB13_669
; %bb.667:
	s_add_i32 s10, s6, 1
	s_mul_i32 s10, s10, s14
	v_add_u32_e32 v54, s10, v0
	v_mov_b32_e32 v55, 0
	v_lshlrev_b64 v[54:55], 2, v[54:55]
	v_mov_b32_e32 v1, s1
	v_add_co_u32_e32 v54, vcc, s0, v54
	v_addc_co_u32_e32 v55, vcc, v1, v55, vcc
	global_load_dword v1, v[54:55], off
	s_mov_b64 s[10:11], 0
	s_waitcnt vmcnt(0)
	v_alignbit_b32 v1, v1, v56, 31
	v_and_b32_e32 v54, 7, v1
	s_branch .LBB13_670
.LBB13_668:
                                        ; implicit-def: $vgpr54_vgpr55
	s_mov_b64 s[10:11], 0
	s_cbranch_execnz .LBB13_671
	s_branch .LBB13_672
.LBB13_669:
	s_mov_b64 s[10:11], -1
                                        ; implicit-def: $vgpr54_vgpr55
.LBB13_670:
	s_branch .LBB13_672
.LBB13_671:
	s_cmp_lg_u32 s15, 10
	s_mov_b64 s[8:9], -1
	s_cselect_b64 s[10:11], -1, 0
                                        ; implicit-def: $vgpr54_vgpr55
.LBB13_672:
	s_andn2_b64 vcc, exec, s[10:11]
	s_cbranch_vccz .LBB13_678
; %bb.673:
	s_andn2_b64 vcc, exec, s[8:9]
	s_cbranch_vccnz .LBB13_675
.LBB13_674:
	s_add_i32 s6, s6, 1
	s_mul_i32 s6, s6, s14
	v_add_u32_e32 v54, s6, v0
	v_mov_b32_e32 v55, 0
	v_lshlrev_b64 v[54:55], 2, v[54:55]
	v_mov_b32_e32 v1, s1
	v_add_co_u32_e32 v54, vcc, s0, v54
	v_addc_co_u32_e32 v55, vcc, v1, v55, vcc
	global_load_dword v1, v[54:55], off
	s_waitcnt vmcnt(0)
	v_alignbit_b32 v1, v1, v56, 30
	v_and_b32_e32 v54, 7, v1
.LBB13_675:
	s_load_dword s6, s[4:5], 0x6c
	s_waitcnt lgkmcnt(0)
	s_ashr_i32 s8, s6, 31
	s_lshr_b32 s8, s8, 27
	s_add_i32 s8, s6, s8
	s_ashr_i32 s12, s8, 5
	s_andn2_b32 s8, s8, 31
	s_sub_i32 s15, s6, s8
	s_cmp_lt_i32 s15, 21
	s_mul_i32 s12, s12, 3
	s_cbranch_scc1 .LBB13_679
; %bb.676:
	s_cmp_eq_u32 s15, 21
	s_cbranch_scc0 .LBB13_680
; %bb.677:
	s_add_i32 s6, s12, 1
	s_mov_b64 s[8:9], 0
	s_mov_b32 s16, 14
	s_branch .LBB13_681
.LBB13_678:
	v_mov_b32_e32 v57, 0
	s_waitcnt vmcnt(0)
	v_lshrrev_b64 v[54:55], s16, v[56:57]
	v_and_b32_e32 v54, 7, v54
	s_cbranch_execz .LBB13_674
	s_branch .LBB13_675
.LBB13_679:
	s_mov_b64 s[8:9], 0
                                        ; implicit-def: $sgpr16
                                        ; implicit-def: $sgpr6
	s_cbranch_execnz .LBB13_682
	s_branch .LBB13_683
.LBB13_680:
	s_mov_b64 s[8:9], -1
                                        ; implicit-def: $sgpr16
                                        ; implicit-def: $sgpr6
.LBB13_681:
	s_branch .LBB13_683
.LBB13_682:
	s_cmp_lg_u32 s15, 10
	s_mov_b32 s16, 14
	s_cselect_b64 s[8:9], -1, 0
	s_mov_b32 s6, s12
.LBB13_683:
	s_andn2_b64 vcc, exec, s[8:9]
	s_cbranch_vccnz .LBB13_690
; %bb.684:
	s_cmp_gt_i32 s15, 21
	s_mul_i32 s10, s15, 3
	s_cbranch_scc1 .LBB13_688
; %bb.685:
	s_cmp_lt_i32 s15, 11
	s_mov_b32 s16, s10
	s_mov_b32 s6, s12
	s_cbranch_scc1 .LBB13_687
; %bb.686:
	s_sub_i32 s16, s10, 32
	s_add_i32 s6, s12, 1
.LBB13_687:
	s_cbranch_execz .LBB13_689
	s_branch .LBB13_690
.LBB13_688:
                                        ; implicit-def: $sgpr16
                                        ; implicit-def: $sgpr6
.LBB13_689:
	s_sub_i32 s16, s10, 64
	s_add_i32 s6, s12, 2
.LBB13_690:
	s_mul_i32 s8, s6, s14
	s_waitcnt vmcnt(0)
	v_add_u32_e32 v56, s8, v0
	v_mov_b32_e32 v57, 0
	v_lshlrev_b64 v[56:57], 2, v[56:57]
	v_mov_b32_e32 v1, s1
	v_add_co_u32_e32 v56, vcc, s0, v56
	v_addc_co_u32_e32 v57, vcc, v1, v57, vcc
	global_load_dword v58, v[56:57], off
	s_cmp_lt_i32 s15, 21
	s_mov_b64 s[8:9], 0
	s_cbranch_scc1 .LBB13_693
; %bb.691:
	s_cmp_eq_u32 s15, 21
	s_cbranch_scc0 .LBB13_694
; %bb.692:
	s_add_i32 s10, s6, 1
	s_mul_i32 s10, s10, s14
	v_add_u32_e32 v56, s10, v0
	v_mov_b32_e32 v57, 0
	v_lshlrev_b64 v[56:57], 2, v[56:57]
	v_mov_b32_e32 v1, s1
	v_add_co_u32_e32 v56, vcc, s0, v56
	v_addc_co_u32_e32 v57, vcc, v1, v57, vcc
	global_load_dword v1, v[56:57], off
	s_mov_b64 s[10:11], 0
	s_waitcnt vmcnt(0)
	v_alignbit_b32 v1, v1, v58, 31
	v_and_b32_e32 v56, 7, v1
	s_branch .LBB13_695
.LBB13_693:
                                        ; implicit-def: $vgpr56_vgpr57
	s_mov_b64 s[10:11], 0
	s_cbranch_execnz .LBB13_696
	s_branch .LBB13_697
.LBB13_694:
	s_mov_b64 s[10:11], -1
                                        ; implicit-def: $vgpr56_vgpr57
.LBB13_695:
	s_branch .LBB13_697
.LBB13_696:
	s_cmp_lg_u32 s15, 10
	s_mov_b64 s[8:9], -1
	s_cselect_b64 s[10:11], -1, 0
                                        ; implicit-def: $vgpr56_vgpr57
.LBB13_697:
	s_andn2_b64 vcc, exec, s[10:11]
	s_cbranch_vccz .LBB13_703
; %bb.698:
	s_andn2_b64 vcc, exec, s[8:9]
	s_cbranch_vccnz .LBB13_700
.LBB13_699:
	s_add_i32 s6, s6, 1
	s_mul_i32 s6, s6, s14
	v_add_u32_e32 v56, s6, v0
	v_mov_b32_e32 v57, 0
	v_lshlrev_b64 v[56:57], 2, v[56:57]
	v_mov_b32_e32 v1, s1
	v_add_co_u32_e32 v56, vcc, s0, v56
	v_addc_co_u32_e32 v57, vcc, v1, v57, vcc
	global_load_dword v1, v[56:57], off
	s_waitcnt vmcnt(0)
	v_alignbit_b32 v1, v1, v58, 30
	v_and_b32_e32 v56, 7, v1
.LBB13_700:
	s_load_dword s6, s[4:5], 0x70
	s_waitcnt lgkmcnt(0)
	s_ashr_i32 s8, s6, 31
	s_lshr_b32 s8, s8, 27
	s_add_i32 s8, s6, s8
	s_ashr_i32 s12, s8, 5
	s_andn2_b32 s8, s8, 31
	s_sub_i32 s15, s6, s8
	s_cmp_lt_i32 s15, 21
	s_mul_i32 s12, s12, 3
	s_cbranch_scc1 .LBB13_704
; %bb.701:
	s_cmp_eq_u32 s15, 21
	s_cbranch_scc0 .LBB13_705
; %bb.702:
	s_add_i32 s6, s12, 1
	s_mov_b64 s[8:9], 0
	s_mov_b32 s16, 17
	s_branch .LBB13_706
.LBB13_703:
	v_mov_b32_e32 v59, 0
	s_waitcnt vmcnt(0)
	v_lshrrev_b64 v[56:57], s16, v[58:59]
	v_and_b32_e32 v56, 7, v56
	s_cbranch_execz .LBB13_699
	s_branch .LBB13_700
.LBB13_704:
	s_mov_b64 s[8:9], 0
                                        ; implicit-def: $sgpr16
                                        ; implicit-def: $sgpr6
	s_cbranch_execnz .LBB13_707
	s_branch .LBB13_708
.LBB13_705:
	s_mov_b64 s[8:9], -1
                                        ; implicit-def: $sgpr16
                                        ; implicit-def: $sgpr6
.LBB13_706:
	s_branch .LBB13_708
.LBB13_707:
	s_cmp_lg_u32 s15, 10
	s_mov_b32 s16, 17
	s_cselect_b64 s[8:9], -1, 0
	s_mov_b32 s6, s12
.LBB13_708:
	s_andn2_b64 vcc, exec, s[8:9]
	s_cbranch_vccnz .LBB13_715
; %bb.709:
	s_cmp_gt_i32 s15, 21
	s_mul_i32 s10, s15, 3
	s_cbranch_scc1 .LBB13_713
; %bb.710:
	s_cmp_lt_i32 s15, 11
	s_mov_b32 s16, s10
	s_mov_b32 s6, s12
	s_cbranch_scc1 .LBB13_712
; %bb.711:
	s_sub_i32 s16, s10, 32
	s_add_i32 s6, s12, 1
.LBB13_712:
	s_cbranch_execz .LBB13_714
	s_branch .LBB13_715
.LBB13_713:
                                        ; implicit-def: $sgpr16
                                        ; implicit-def: $sgpr6
.LBB13_714:
	s_sub_i32 s16, s10, 64
	s_add_i32 s6, s12, 2
.LBB13_715:
	s_mul_i32 s8, s6, s14
	s_waitcnt vmcnt(0)
	v_add_u32_e32 v58, s8, v0
	v_mov_b32_e32 v59, 0
	v_lshlrev_b64 v[58:59], 2, v[58:59]
	v_mov_b32_e32 v1, s1
	v_add_co_u32_e32 v58, vcc, s0, v58
	v_addc_co_u32_e32 v59, vcc, v1, v59, vcc
	global_load_dword v60, v[58:59], off
	s_cmp_lt_i32 s15, 21
	s_mov_b64 s[8:9], 0
	s_cbranch_scc1 .LBB13_718
; %bb.716:
	s_cmp_eq_u32 s15, 21
	s_cbranch_scc0 .LBB13_719
; %bb.717:
	s_add_i32 s10, s6, 1
	s_mul_i32 s10, s10, s14
	v_add_u32_e32 v58, s10, v0
	v_mov_b32_e32 v59, 0
	v_lshlrev_b64 v[58:59], 2, v[58:59]
	v_mov_b32_e32 v1, s1
	v_add_co_u32_e32 v58, vcc, s0, v58
	v_addc_co_u32_e32 v59, vcc, v1, v59, vcc
	global_load_dword v1, v[58:59], off
	s_mov_b64 s[10:11], 0
	s_waitcnt vmcnt(0)
	v_alignbit_b32 v1, v1, v60, 31
	v_and_b32_e32 v58, 7, v1
	s_branch .LBB13_720
.LBB13_718:
                                        ; implicit-def: $vgpr58_vgpr59
	s_mov_b64 s[10:11], 0
	s_cbranch_execnz .LBB13_721
	s_branch .LBB13_722
.LBB13_719:
	s_mov_b64 s[10:11], -1
                                        ; implicit-def: $vgpr58_vgpr59
.LBB13_720:
	s_branch .LBB13_722
.LBB13_721:
	s_cmp_lg_u32 s15, 10
	s_mov_b64 s[8:9], -1
	s_cselect_b64 s[10:11], -1, 0
                                        ; implicit-def: $vgpr58_vgpr59
.LBB13_722:
	s_andn2_b64 vcc, exec, s[10:11]
	s_cbranch_vccz .LBB13_728
; %bb.723:
	s_andn2_b64 vcc, exec, s[8:9]
	s_cbranch_vccnz .LBB13_725
.LBB13_724:
	s_add_i32 s6, s6, 1
	s_mul_i32 s6, s6, s14
	v_add_u32_e32 v58, s6, v0
	v_mov_b32_e32 v59, 0
	v_lshlrev_b64 v[58:59], 2, v[58:59]
	v_mov_b32_e32 v1, s1
	v_add_co_u32_e32 v58, vcc, s0, v58
	v_addc_co_u32_e32 v59, vcc, v1, v59, vcc
	global_load_dword v1, v[58:59], off
	s_waitcnt vmcnt(0)
	v_alignbit_b32 v1, v1, v60, 30
	v_and_b32_e32 v58, 7, v1
.LBB13_725:
	s_load_dword s6, s[4:5], 0x74
	s_waitcnt lgkmcnt(0)
	s_ashr_i32 s8, s6, 31
	s_lshr_b32 s8, s8, 27
	s_add_i32 s8, s6, s8
	s_ashr_i32 s12, s8, 5
	s_andn2_b32 s8, s8, 31
	s_sub_i32 s15, s6, s8
	s_cmp_lt_i32 s15, 21
	s_mul_i32 s12, s12, 3
	s_cbranch_scc1 .LBB13_729
; %bb.726:
	s_cmp_eq_u32 s15, 21
	s_cbranch_scc0 .LBB13_730
; %bb.727:
	s_add_i32 s6, s12, 1
	s_mov_b64 s[8:9], 0
	s_mov_b32 s16, 20
	s_branch .LBB13_731
.LBB13_728:
	v_mov_b32_e32 v61, 0
	s_waitcnt vmcnt(0)
	v_lshrrev_b64 v[58:59], s16, v[60:61]
	v_and_b32_e32 v58, 7, v58
	s_cbranch_execz .LBB13_724
	s_branch .LBB13_725
.LBB13_729:
	s_mov_b64 s[8:9], 0
                                        ; implicit-def: $sgpr16
                                        ; implicit-def: $sgpr6
	s_cbranch_execnz .LBB13_732
	s_branch .LBB13_733
.LBB13_730:
	s_mov_b64 s[8:9], -1
                                        ; implicit-def: $sgpr16
                                        ; implicit-def: $sgpr6
.LBB13_731:
	s_branch .LBB13_733
.LBB13_732:
	s_cmp_lg_u32 s15, 10
	s_mov_b32 s16, 20
	s_cselect_b64 s[8:9], -1, 0
	s_mov_b32 s6, s12
.LBB13_733:
	s_andn2_b64 vcc, exec, s[8:9]
	s_cbranch_vccnz .LBB13_740
; %bb.734:
	s_cmp_gt_i32 s15, 21
	s_mul_i32 s10, s15, 3
	s_cbranch_scc1 .LBB13_738
; %bb.735:
	s_cmp_lt_i32 s15, 11
	s_mov_b32 s16, s10
	s_mov_b32 s6, s12
	s_cbranch_scc1 .LBB13_737
; %bb.736:
	s_sub_i32 s16, s10, 32
	s_add_i32 s6, s12, 1
.LBB13_737:
	s_cbranch_execz .LBB13_739
	s_branch .LBB13_740
.LBB13_738:
                                        ; implicit-def: $sgpr16
                                        ; implicit-def: $sgpr6
.LBB13_739:
	s_sub_i32 s16, s10, 64
	s_add_i32 s6, s12, 2
.LBB13_740:
	s_mul_i32 s8, s6, s14
	s_waitcnt vmcnt(0)
	v_add_u32_e32 v60, s8, v0
	v_mov_b32_e32 v61, 0
	v_lshlrev_b64 v[60:61], 2, v[60:61]
	v_mov_b32_e32 v1, s1
	v_add_co_u32_e32 v60, vcc, s0, v60
	v_addc_co_u32_e32 v61, vcc, v1, v61, vcc
	global_load_dword v60, v[60:61], off
	s_cmp_lt_i32 s15, 21
	s_mov_b64 s[8:9], 0
	s_cbranch_scc1 .LBB13_743
; %bb.741:
	s_cmp_eq_u32 s15, 21
	s_cbranch_scc0 .LBB13_744
; %bb.742:
	s_add_i32 s10, s6, 1
	s_mul_i32 s10, s10, s14
	v_add_u32_e32 v62, s10, v0
	v_mov_b32_e32 v63, 0
	v_lshlrev_b64 v[62:63], 2, v[62:63]
	v_mov_b32_e32 v1, s1
	v_add_co_u32_e32 v62, vcc, s0, v62
	v_addc_co_u32_e32 v63, vcc, v1, v63, vcc
	global_load_dword v1, v[62:63], off
	s_mov_b64 s[10:11], 0
	s_waitcnt vmcnt(0)
	v_alignbit_b32 v1, v1, v60, 31
	v_and_b32_e32 v1, 7, v1
	s_branch .LBB13_745
.LBB13_743:
                                        ; implicit-def: $vgpr1
	s_mov_b64 s[10:11], 0
	s_cbranch_execnz .LBB13_746
	s_branch .LBB13_747
.LBB13_744:
	s_mov_b64 s[10:11], -1
                                        ; implicit-def: $vgpr1
.LBB13_745:
	s_branch .LBB13_747
.LBB13_746:
	s_cmp_lg_u32 s15, 10
	s_mov_b64 s[8:9], -1
	s_cselect_b64 s[10:11], -1, 0
                                        ; implicit-def: $vgpr1
.LBB13_747:
	s_andn2_b64 vcc, exec, s[10:11]
	s_cbranch_vccz .LBB13_753
; %bb.748:
	s_andn2_b64 vcc, exec, s[8:9]
	s_cbranch_vccnz .LBB13_750
.LBB13_749:
	s_add_i32 s6, s6, 1
	s_mul_i32 s6, s6, s14
	v_add_u32_e32 v62, s6, v0
	v_mov_b32_e32 v63, 0
	v_lshlrev_b64 v[62:63], 2, v[62:63]
	v_mov_b32_e32 v1, s1
	v_add_co_u32_e32 v62, vcc, s0, v62
	v_addc_co_u32_e32 v63, vcc, v1, v63, vcc
	global_load_dword v1, v[62:63], off
	s_waitcnt vmcnt(0)
	v_alignbit_b32 v1, v1, v60, 30
	v_and_b32_e32 v1, 7, v1
.LBB13_750:
	s_load_dword s6, s[4:5], 0x78
	s_waitcnt lgkmcnt(0)
	s_ashr_i32 s8, s6, 31
	s_lshr_b32 s8, s8, 27
	s_add_i32 s8, s6, s8
	s_ashr_i32 s12, s8, 5
	s_andn2_b32 s8, s8, 31
	s_sub_i32 s15, s6, s8
	s_cmp_lt_i32 s15, 21
	s_mul_i32 s12, s12, 3
	s_cbranch_scc1 .LBB13_754
; %bb.751:
	s_cmp_eq_u32 s15, 21
	s_cbranch_scc0 .LBB13_755
; %bb.752:
	s_add_i32 s6, s12, 1
	s_mov_b64 s[8:9], 0
	s_mov_b32 s16, 23
	s_branch .LBB13_756
.LBB13_753:
	v_mov_b32_e32 v61, 0
	s_waitcnt vmcnt(0)
	v_lshrrev_b64 v[62:63], s16, v[60:61]
	v_and_b32_e32 v1, 7, v62
	s_cbranch_execz .LBB13_749
	s_branch .LBB13_750
.LBB13_754:
	s_mov_b64 s[8:9], 0
                                        ; implicit-def: $sgpr16
                                        ; implicit-def: $sgpr6
	s_cbranch_execnz .LBB13_757
	s_branch .LBB13_758
.LBB13_755:
	s_mov_b64 s[8:9], -1
                                        ; implicit-def: $sgpr16
                                        ; implicit-def: $sgpr6
.LBB13_756:
	s_branch .LBB13_758
.LBB13_757:
	s_cmp_lg_u32 s15, 10
	s_mov_b32 s16, 23
	s_cselect_b64 s[8:9], -1, 0
	s_mov_b32 s6, s12
.LBB13_758:
	s_andn2_b64 vcc, exec, s[8:9]
	s_cbranch_vccnz .LBB13_765
; %bb.759:
	s_cmp_gt_i32 s15, 21
	s_mul_i32 s10, s15, 3
	s_cbranch_scc1 .LBB13_763
; %bb.760:
	s_cmp_lt_i32 s15, 11
	s_mov_b32 s16, s10
	s_mov_b32 s6, s12
	s_cbranch_scc1 .LBB13_762
; %bb.761:
	s_sub_i32 s16, s10, 32
	s_add_i32 s6, s12, 1
.LBB13_762:
	s_cbranch_execz .LBB13_764
	s_branch .LBB13_765
.LBB13_763:
                                        ; implicit-def: $sgpr16
                                        ; implicit-def: $sgpr6
.LBB13_764:
	s_sub_i32 s16, s10, 64
	s_add_i32 s6, s12, 2
.LBB13_765:
	s_mul_i32 s8, s6, s14
	s_waitcnt vmcnt(0)
	v_add_u32_e32 v60, s8, v0
	v_mov_b32_e32 v61, 0
	v_lshlrev_b64 v[60:61], 2, v[60:61]
	v_mov_b32_e32 v3, s1
	v_add_co_u32_e32 v60, vcc, s0, v60
	v_addc_co_u32_e32 v61, vcc, v3, v61, vcc
	global_load_dword v60, v[60:61], off
	s_cmp_lt_i32 s15, 21
	s_mov_b64 s[8:9], 0
	s_cbranch_scc1 .LBB13_768
; %bb.766:
	s_cmp_eq_u32 s15, 21
	s_cbranch_scc0 .LBB13_769
; %bb.767:
	s_add_i32 s10, s6, 1
	s_mul_i32 s10, s10, s14
	v_add_u32_e32 v62, s10, v0
	v_mov_b32_e32 v63, 0
	v_lshlrev_b64 v[62:63], 2, v[62:63]
	v_mov_b32_e32 v3, s1
	v_add_co_u32_e32 v62, vcc, s0, v62
	v_addc_co_u32_e32 v63, vcc, v3, v63, vcc
	global_load_dword v3, v[62:63], off
	s_mov_b64 s[10:11], 0
	s_waitcnt vmcnt(0)
	v_alignbit_b32 v3, v3, v60, 31
	v_and_b32_e32 v3, 7, v3
	s_branch .LBB13_770
.LBB13_768:
                                        ; implicit-def: $vgpr3
	s_mov_b64 s[10:11], 0
	s_cbranch_execnz .LBB13_771
	s_branch .LBB13_772
.LBB13_769:
	s_mov_b64 s[10:11], -1
                                        ; implicit-def: $vgpr3
.LBB13_770:
	s_branch .LBB13_772
.LBB13_771:
	s_cmp_lg_u32 s15, 10
	s_mov_b64 s[8:9], -1
	s_cselect_b64 s[10:11], -1, 0
                                        ; implicit-def: $vgpr3
.LBB13_772:
	s_andn2_b64 vcc, exec, s[10:11]
	s_cbranch_vccz .LBB13_778
; %bb.773:
	s_andn2_b64 vcc, exec, s[8:9]
	s_cbranch_vccnz .LBB13_775
.LBB13_774:
	s_add_i32 s6, s6, 1
	s_mul_i32 s6, s6, s14
	v_add_u32_e32 v62, s6, v0
	v_mov_b32_e32 v63, 0
	v_lshlrev_b64 v[62:63], 2, v[62:63]
	v_mov_b32_e32 v3, s1
	v_add_co_u32_e32 v62, vcc, s0, v62
	v_addc_co_u32_e32 v63, vcc, v3, v63, vcc
	global_load_dword v3, v[62:63], off
	s_waitcnt vmcnt(0)
	v_alignbit_b32 v3, v3, v60, 30
	v_and_b32_e32 v3, 7, v3
.LBB13_775:
	s_load_dword s4, s[4:5], 0x7c
	s_waitcnt lgkmcnt(0)
	s_ashr_i32 s5, s4, 31
	s_lshr_b32 s5, s5, 27
	s_add_i32 s5, s4, s5
	s_ashr_i32 s10, s5, 5
	s_andn2_b32 s5, s5, 31
	s_sub_i32 s6, s4, s5
	s_cmp_lt_i32 s6, 21
	s_mul_i32 s10, s10, 3
	s_cbranch_scc1 .LBB13_779
; %bb.776:
	s_cmp_eq_u32 s6, 21
	s_cbranch_scc0 .LBB13_780
; %bb.777:
	s_add_i32 s11, s10, 1
	s_mov_b64 s[4:5], 0
	s_mov_b32 s12, 26
	s_branch .LBB13_781
.LBB13_778:
	v_mov_b32_e32 v61, 0
	s_waitcnt vmcnt(0)
	v_lshrrev_b64 v[62:63], s16, v[60:61]
	v_and_b32_e32 v3, 7, v62
	s_cbranch_execz .LBB13_774
	s_branch .LBB13_775
.LBB13_779:
	s_mov_b64 s[4:5], 0
                                        ; implicit-def: $sgpr12
                                        ; implicit-def: $sgpr11
	s_cbranch_execnz .LBB13_782
	s_branch .LBB13_783
.LBB13_780:
	s_mov_b64 s[4:5], -1
                                        ; implicit-def: $sgpr12
                                        ; implicit-def: $sgpr11
.LBB13_781:
	s_branch .LBB13_783
.LBB13_782:
	s_cmp_lg_u32 s6, 10
	s_mov_b32 s12, 26
	s_cselect_b64 s[4:5], -1, 0
	s_mov_b32 s11, s10
.LBB13_783:
	s_andn2_b64 vcc, exec, s[4:5]
	s_cbranch_vccnz .LBB13_790
; %bb.784:
	s_cmp_gt_i32 s6, 21
	s_mul_i32 s8, s6, 3
	s_cbranch_scc1 .LBB13_788
; %bb.785:
	s_cmp_lt_i32 s6, 11
	s_mov_b32 s12, s8
	s_mov_b32 s11, s10
	s_cbranch_scc1 .LBB13_787
; %bb.786:
	s_sub_i32 s12, s8, 32
	s_add_i32 s11, s10, 1
.LBB13_787:
	s_cbranch_execz .LBB13_789
	s_branch .LBB13_790
.LBB13_788:
                                        ; implicit-def: $sgpr12
                                        ; implicit-def: $sgpr11
.LBB13_789:
	s_sub_i32 s12, s8, 64
	s_add_i32 s11, s10, 2
.LBB13_790:
	s_mul_i32 s4, s11, s14
	v_add_u32_e32 v62, s4, v0
	v_mov_b32_e32 v63, 0
	s_waitcnt vmcnt(0)
	v_lshlrev_b64 v[60:61], 2, v[62:63]
	v_mov_b32_e32 v5, s1
	v_add_co_u32_e32 v60, vcc, s0, v60
	v_addc_co_u32_e32 v61, vcc, v5, v61, vcc
	global_load_dword v60, v[60:61], off
	s_cmp_lt_i32 s6, 21
	s_mov_b64 s[4:5], 0
	s_cbranch_scc1 .LBB13_793
; %bb.791:
	s_cmp_eq_u32 s6, 21
	s_cbranch_scc0 .LBB13_794
; %bb.792:
	v_add_u32_e32 v64, s14, v62
	v_mov_b32_e32 v65, 0
	v_lshlrev_b64 v[64:65], 2, v[64:65]
	v_mov_b32_e32 v5, s1
	v_add_co_u32_e32 v64, vcc, s0, v64
	v_addc_co_u32_e32 v65, vcc, v5, v65, vcc
	global_load_dword v5, v[64:65], off
	s_mov_b64 s[8:9], 0
	s_waitcnt vmcnt(0)
	v_alignbit_b32 v5, v5, v60, 31
	v_and_b32_e32 v5, 7, v5
	s_branch .LBB13_795
.LBB13_793:
                                        ; implicit-def: $vgpr5
	s_mov_b64 s[8:9], 0
	s_cbranch_execnz .LBB13_796
	s_branch .LBB13_797
.LBB13_794:
	s_mov_b64 s[8:9], -1
                                        ; implicit-def: $vgpr5
.LBB13_795:
	s_branch .LBB13_797
.LBB13_796:
	s_cmp_lg_u32 s6, 10
	s_mov_b64 s[4:5], -1
	s_cselect_b64 s[8:9], -1, 0
                                        ; implicit-def: $vgpr5
.LBB13_797:
	s_andn2_b64 vcc, exec, s[8:9]
	s_cbranch_vccz .LBB13_802
; %bb.798:
	s_andn2_b64 vcc, exec, s[4:5]
	s_cbranch_vccnz .LBB13_800
.LBB13_799:
	v_add_u32_e32 v62, s14, v62
	v_mov_b32_e32 v63, 0
	v_lshlrev_b64 v[62:63], 2, v[62:63]
	v_mov_b32_e32 v5, s1
	v_add_co_u32_e32 v62, vcc, s0, v62
	v_addc_co_u32_e32 v63, vcc, v5, v63, vcc
	global_load_dword v5, v[62:63], off
	s_waitcnt vmcnt(0)
	v_alignbit_b32 v5, v5, v60, 30
	v_and_b32_e32 v5, 7, v5
.LBB13_800:
	v_lshlrev_b32_e32 v4, 3, v4
	v_lshlrev_b32_e32 v6, 6, v6
	;; [unrolled: 1-line block ×4, first 2 shown]
	v_lshrrev_b32_e32 v11, 1, v44
	v_or3_b32 v2, v4, v2, v6
	v_lshlrev_b32_e32 v4, 9, v8
	v_lshlrev_b32_e32 v6, 12, v10
	v_or3_b32 v7, v11, v7, v9
	v_lshlrev_b32_e32 v9, 8, v50
	v_lshlrev_b32_e32 v11, 11, v52
	;; [unrolled: 3-line block ×7, first 2 shown]
	v_or3_b32 v1, v7, v9, v1
	v_lshlrev_b32_e32 v3, 26, v3
	v_or3_b32 v4, v2, v4, v6
	v_lshlrev_b32_e32 v2, 29, v5
	s_mul_i32 s7, s7, s14
	v_or3_b32 v5, v1, v3, v2
	v_mad_u64_u32 v[0:1], s[0:1], s7, 3, v[0:1]
	v_mov_b32_e32 v1, 0
	v_lshlrev_b64 v[2:3], 2, v[0:1]
	v_lshrrev_b32_e32 v7, 2, v22
	v_mov_b32_e32 v6, s3
	v_add_co_u32_e32 v2, vcc, s2, v2
	v_lshl_or_b32 v7, v24, 1, v7
	v_lshlrev_b32_e32 v9, 4, v26
	v_lshlrev_b32_e32 v11, 7, v28
	v_addc_co_u32_e32 v3, vcc, v6, v3, vcc
	v_add_u32_e32 v0, s14, v0
	v_or3_b32 v7, v7, v9, v11
	v_lshlrev_b32_e32 v9, 10, v30
	v_lshlrev_b32_e32 v11, 13, v32
	global_store_dword v[2:3], v4, off
	v_lshlrev_b64 v[2:3], 2, v[0:1]
	v_or3_b32 v7, v7, v9, v11
	v_lshlrev_b32_e32 v9, 16, v34
	v_lshlrev_b32_e32 v11, 19, v36
	v_add_co_u32_e32 v2, vcc, s2, v2
	v_add_u32_e32 v0, s14, v0
	v_or3_b32 v7, v7, v9, v11
	v_lshlrev_b32_e32 v9, 22, v38
	v_lshlrev_b32_e32 v11, 25, v40
	v_addc_co_u32_e32 v3, vcc, v6, v3, vcc
	v_lshlrev_b64 v[0:1], 2, v[0:1]
	v_or3_b32 v7, v7, v9, v11
	v_lshlrev_b32_e32 v9, 28, v42
	v_lshlrev_b32_e32 v11, 31, v44
	v_add_co_u32_e32 v0, vcc, s2, v0
	v_or3_b32 v7, v7, v9, v11
	v_addc_co_u32_e32 v1, vcc, v6, v1, vcc
	global_store_dword v[2:3], v7, off
	global_store_dword v[0:1], v5, off
.LBB13_801:
	s_endpgm
.LBB13_802:
	v_mov_b32_e32 v61, 0
	s_waitcnt vmcnt(0)
	v_lshrrev_b64 v[64:65], s12, v[60:61]
	v_and_b32_e32 v5, 7, v64
	s_cbranch_execz .LBB13_799
	s_branch .LBB13_800
	.section	.rodata,"a",@progbits
	.p2align	6, 0x0
	.amdhsa_kernel _ZN4vllm4gptq27make_sequential_3bit_kernelEPKjPjPKii
		.amdhsa_group_segment_fixed_size 0
		.amdhsa_private_segment_fixed_size 0
		.amdhsa_kernarg_size 28
		.amdhsa_user_sgpr_count 6
		.amdhsa_user_sgpr_private_segment_buffer 1
		.amdhsa_user_sgpr_dispatch_ptr 0
		.amdhsa_user_sgpr_queue_ptr 0
		.amdhsa_user_sgpr_kernarg_segment_ptr 1
		.amdhsa_user_sgpr_dispatch_id 0
		.amdhsa_user_sgpr_flat_scratch_init 0
		.amdhsa_user_sgpr_kernarg_preload_length 0
		.amdhsa_user_sgpr_kernarg_preload_offset 0
		.amdhsa_user_sgpr_private_segment_size 0
		.amdhsa_uses_dynamic_stack 0
		.amdhsa_system_sgpr_private_segment_wavefront_offset 0
		.amdhsa_system_sgpr_workgroup_id_x 1
		.amdhsa_system_sgpr_workgroup_id_y 1
		.amdhsa_system_sgpr_workgroup_id_z 0
		.amdhsa_system_sgpr_workgroup_info 0
		.amdhsa_system_vgpr_workitem_id 0
		.amdhsa_next_free_vgpr 66
		.amdhsa_next_free_sgpr 17
		.amdhsa_accum_offset 68
		.amdhsa_reserve_vcc 1
		.amdhsa_reserve_flat_scratch 0
		.amdhsa_float_round_mode_32 0
		.amdhsa_float_round_mode_16_64 0
		.amdhsa_float_denorm_mode_32 3
		.amdhsa_float_denorm_mode_16_64 3
		.amdhsa_dx10_clamp 1
		.amdhsa_ieee_mode 1
		.amdhsa_fp16_overflow 0
		.amdhsa_tg_split 0
		.amdhsa_exception_fp_ieee_invalid_op 0
		.amdhsa_exception_fp_denorm_src 0
		.amdhsa_exception_fp_ieee_div_zero 0
		.amdhsa_exception_fp_ieee_overflow 0
		.amdhsa_exception_fp_ieee_underflow 0
		.amdhsa_exception_fp_ieee_inexact 0
		.amdhsa_exception_int_div_zero 0
	.end_amdhsa_kernel
	.text
.Lfunc_end13:
	.size	_ZN4vllm4gptq27make_sequential_3bit_kernelEPKjPjPKii, .Lfunc_end13-_ZN4vllm4gptq27make_sequential_3bit_kernelEPKjPjPKii
                                        ; -- End function
	.section	.AMDGPU.csdata,"",@progbits
; Kernel info:
; codeLenInByte = 14340
; NumSgprs: 21
; NumVgprs: 66
; NumAgprs: 0
; TotalNumVgprs: 66
; ScratchSize: 0
; MemoryBound: 0
; FloatMode: 240
; IeeeMode: 1
; LDSByteSize: 0 bytes/workgroup (compile time only)
; SGPRBlocks: 2
; VGPRBlocks: 8
; NumSGPRsForWavesPerEU: 21
; NumVGPRsForWavesPerEU: 66
; AccumOffset: 68
; Occupancy: 7
; WaveLimiterHint : 0
; COMPUTE_PGM_RSRC2:SCRATCH_EN: 0
; COMPUTE_PGM_RSRC2:USER_SGPR: 6
; COMPUTE_PGM_RSRC2:TRAP_HANDLER: 0
; COMPUTE_PGM_RSRC2:TGID_X_EN: 1
; COMPUTE_PGM_RSRC2:TGID_Y_EN: 1
; COMPUTE_PGM_RSRC2:TGID_Z_EN: 0
; COMPUTE_PGM_RSRC2:TIDIG_COMP_CNT: 0
; COMPUTE_PGM_RSRC3_GFX90A:ACCUM_OFFSET: 16
; COMPUTE_PGM_RSRC3_GFX90A:TG_SPLIT: 0
	.text
	.protected	_ZN4vllm4gptq27make_sequential_8bit_kernelEPKjPjPKii ; -- Begin function _ZN4vllm4gptq27make_sequential_8bit_kernelEPKjPjPKii
	.globl	_ZN4vllm4gptq27make_sequential_8bit_kernelEPKjPjPKii
	.p2align	8
	.type	_ZN4vllm4gptq27make_sequential_8bit_kernelEPKjPjPKii,@function
_ZN4vllm4gptq27make_sequential_8bit_kernelEPKjPjPKii: ; @_ZN4vllm4gptq27make_sequential_8bit_kernelEPKjPjPKii
; %bb.0:
	s_load_dword s0, s[4:5], 0x18
	v_lshl_add_u32 v0, s6, 5, v0
	s_waitcnt lgkmcnt(0)
	s_ashr_i32 s12, s0, 1
	v_cmp_gt_u32_e32 vcc, s12, v0
	s_and_saveexec_b64 s[0:1], vcc
	s_cbranch_execz .LBB14_2
; %bb.1:
	s_load_dwordx2 s[0:1], s[4:5], 0x10
	s_lshl_b32 s2, s7, 2
	s_ashr_i32 s3, s2, 31
	s_lshl_b64 s[2:3], s[2:3], 2
	v_mov_b32_e32 v3, 0
	s_waitcnt lgkmcnt(0)
	s_add_u32 s14, s0, s2
	s_addc_u32 s15, s1, s3
	s_load_dwordx4 s[8:11], s[14:15], 0x0
	s_load_dwordx4 s[0:3], s[4:5], 0x0
	v_mov_b32_e32 v5, v3
	s_waitcnt lgkmcnt(0)
	s_ashr_i32 s5, s8, 2
	s_mul_i32 s5, s5, s12
	s_ashr_i32 s4, s9, 2
	v_add_u32_e32 v2, s5, v0
	s_mul_i32 s4, s4, s12
	v_lshlrev_b64 v[6:7], 3, v[2:3]
	v_add_u32_e32 v4, s4, v0
	v_mov_b32_e32 v1, s1
	v_add_co_u32_e32 v6, vcc, s0, v6
	s_ashr_i32 s4, s10, 2
	v_addc_co_u32_e32 v7, vcc, v1, v7, vcc
	v_lshlrev_b64 v[4:5], 3, v[4:5]
	s_mul_i32 s4, s4, s12
	v_add_co_u32_e32 v4, vcc, s0, v4
	s_ashr_i32 s1, s11, 2
	v_add_u32_e32 v2, s4, v0
	v_addc_co_u32_e32 v5, vcc, v1, v5, vcc
	global_load_dwordx2 v[8:9], v[6:7], off
	global_load_dwordx2 v[10:11], v[4:5], off
	s_mul_i32 s1, s1, s12
	v_lshlrev_b64 v[6:7], 3, v[2:3]
	v_add_u32_e32 v4, s1, v0
	v_add_co_u32_e32 v6, vcc, s0, v6
	v_mov_b32_e32 v5, v3
	v_addc_co_u32_e32 v7, vcc, v1, v7, vcc
	v_lshlrev_b64 v[4:5], 3, v[4:5]
	v_add_co_u32_e32 v4, vcc, s0, v4
	v_addc_co_u32_e32 v5, vcc, v1, v5, vcc
	global_load_dwordx2 v[12:13], v[6:7], off
	global_load_dwordx2 v[14:15], v[4:5], off
	s_lshl_b32 s1, s9, 3
	s_mul_i32 s12, s12, s7
	v_mov_b32_e32 v16, s3
	s_lshl_b32 s0, s8, 3
	s_lshl_b32 s3, s10, 3
	;; [unrolled: 1-line block ×3, first 2 shown]
	s_and_b32 s1, s1, 24
	s_and_b32 s0, s0, 24
	;; [unrolled: 1-line block ×4, first 2 shown]
	v_add_u32_e32 v2, s12, v0
	v_lshlrev_b64 v[0:1], 3, v[2:3]
	v_add_co_u32_e32 v0, vcc, s2, v0
	v_addc_co_u32_e32 v1, vcc, v16, v1, vcc
	s_waitcnt vmcnt(3)
	v_lshrrev_b64 v[2:3], s0, v[8:9]
	s_waitcnt vmcnt(2)
	v_lshrrev_b64 v[4:5], s1, v[10:11]
	v_lshlrev_b64 v[4:5], 8, v[4:5]
	v_and_b32_e32 v10, 0xff00, v5
	v_and_b32_e32 v11, 0xff00, v4
	v_or_b32_sdwa v3, v10, v3 dst_sel:DWORD dst_unused:UNUSED_PAD src0_sel:DWORD src1_sel:BYTE_0
	v_or_b32_sdwa v2, v11, v2 dst_sel:DWORD dst_unused:UNUSED_PAD src0_sel:DWORD src1_sel:BYTE_0
	s_waitcnt vmcnt(1)
	v_lshrrev_b64 v[6:7], s3, v[12:13]
	s_waitcnt vmcnt(0)
	v_lshrrev_b64 v[8:9], s4, v[14:15]
	v_lshlrev_b64 v[4:5], 16, v[6:7]
	v_lshlrev_b64 v[6:7], 24, v[8:9]
	v_and_b32_e32 v5, 0xff0000, v5
	v_and_b32_e32 v4, 0xff0000, v4
	;; [unrolled: 1-line block ×3, first 2 shown]
	v_or3_b32 v3, v5, v3, v7
	v_or3_b32 v2, v4, v2, v6
	global_store_dwordx2 v[0:1], v[2:3], off
.LBB14_2:
	s_endpgm
	.section	.rodata,"a",@progbits
	.p2align	6, 0x0
	.amdhsa_kernel _ZN4vllm4gptq27make_sequential_8bit_kernelEPKjPjPKii
		.amdhsa_group_segment_fixed_size 0
		.amdhsa_private_segment_fixed_size 0
		.amdhsa_kernarg_size 28
		.amdhsa_user_sgpr_count 6
		.amdhsa_user_sgpr_private_segment_buffer 1
		.amdhsa_user_sgpr_dispatch_ptr 0
		.amdhsa_user_sgpr_queue_ptr 0
		.amdhsa_user_sgpr_kernarg_segment_ptr 1
		.amdhsa_user_sgpr_dispatch_id 0
		.amdhsa_user_sgpr_flat_scratch_init 0
		.amdhsa_user_sgpr_kernarg_preload_length 0
		.amdhsa_user_sgpr_kernarg_preload_offset 0
		.amdhsa_user_sgpr_private_segment_size 0
		.amdhsa_uses_dynamic_stack 0
		.amdhsa_system_sgpr_private_segment_wavefront_offset 0
		.amdhsa_system_sgpr_workgroup_id_x 1
		.amdhsa_system_sgpr_workgroup_id_y 1
		.amdhsa_system_sgpr_workgroup_id_z 0
		.amdhsa_system_sgpr_workgroup_info 0
		.amdhsa_system_vgpr_workitem_id 0
		.amdhsa_next_free_vgpr 17
		.amdhsa_next_free_sgpr 16
		.amdhsa_accum_offset 20
		.amdhsa_reserve_vcc 1
		.amdhsa_reserve_flat_scratch 0
		.amdhsa_float_round_mode_32 0
		.amdhsa_float_round_mode_16_64 0
		.amdhsa_float_denorm_mode_32 3
		.amdhsa_float_denorm_mode_16_64 3
		.amdhsa_dx10_clamp 1
		.amdhsa_ieee_mode 1
		.amdhsa_fp16_overflow 0
		.amdhsa_tg_split 0
		.amdhsa_exception_fp_ieee_invalid_op 0
		.amdhsa_exception_fp_denorm_src 0
		.amdhsa_exception_fp_ieee_div_zero 0
		.amdhsa_exception_fp_ieee_overflow 0
		.amdhsa_exception_fp_ieee_underflow 0
		.amdhsa_exception_fp_ieee_inexact 0
		.amdhsa_exception_int_div_zero 0
	.end_amdhsa_kernel
	.text
.Lfunc_end14:
	.size	_ZN4vllm4gptq27make_sequential_8bit_kernelEPKjPjPKii, .Lfunc_end14-_ZN4vllm4gptq27make_sequential_8bit_kernelEPKjPjPKii
                                        ; -- End function
	.section	.AMDGPU.csdata,"",@progbits
; Kernel info:
; codeLenInByte = 464
; NumSgprs: 20
; NumVgprs: 17
; NumAgprs: 0
; TotalNumVgprs: 17
; ScratchSize: 0
; MemoryBound: 0
; FloatMode: 240
; IeeeMode: 1
; LDSByteSize: 0 bytes/workgroup (compile time only)
; SGPRBlocks: 2
; VGPRBlocks: 2
; NumSGPRsForWavesPerEU: 20
; NumVGPRsForWavesPerEU: 17
; AccumOffset: 20
; Occupancy: 8
; WaveLimiterHint : 0
; COMPUTE_PGM_RSRC2:SCRATCH_EN: 0
; COMPUTE_PGM_RSRC2:USER_SGPR: 6
; COMPUTE_PGM_RSRC2:TRAP_HANDLER: 0
; COMPUTE_PGM_RSRC2:TGID_X_EN: 1
; COMPUTE_PGM_RSRC2:TGID_Y_EN: 1
; COMPUTE_PGM_RSRC2:TGID_Z_EN: 0
; COMPUTE_PGM_RSRC2:TIDIG_COMP_CNT: 0
; COMPUTE_PGM_RSRC3_GFX90A:ACCUM_OFFSET: 4
; COMPUTE_PGM_RSRC3_GFX90A:TG_SPLIT: 0
	.section	.text._ZN4vllm4gptq33gemm_half_q_half_gptq_2bit_kernelILb1ELi1EEEvPK6__halfPKjS6_S4_PS2_iiiibPKi,"axG",@progbits,_ZN4vllm4gptq33gemm_half_q_half_gptq_2bit_kernelILb1ELi1EEEvPK6__halfPKjS6_S4_PS2_iiiibPKi,comdat
	.protected	_ZN4vllm4gptq33gemm_half_q_half_gptq_2bit_kernelILb1ELi1EEEvPK6__halfPKjS6_S4_PS2_iiiibPKi ; -- Begin function _ZN4vllm4gptq33gemm_half_q_half_gptq_2bit_kernelILb1ELi1EEEvPK6__halfPKjS6_S4_PS2_iiiibPKi
	.globl	_ZN4vllm4gptq33gemm_half_q_half_gptq_2bit_kernelILb1ELi1EEEvPK6__halfPKjS6_S4_PS2_iiiibPKi
	.p2align	8
	.type	_ZN4vllm4gptq33gemm_half_q_half_gptq_2bit_kernelILb1ELi1EEEvPK6__halfPKjS6_S4_PS2_iiiibPKi,@function
_ZN4vllm4gptq33gemm_half_q_half_gptq_2bit_kernelILb1ELi1EEEvPK6__halfPKjS6_S4_PS2_iiiibPKi: ; @_ZN4vllm4gptq33gemm_half_q_half_gptq_2bit_kernelILb1ELi1EEEvPK6__halfPKjS6_S4_PS2_iiiibPKi
; %bb.0:
	s_load_dwordx4 s[0:3], s[4:5], 0x2c
	s_load_dwordx8 s[12:19], s[4:5], 0x8
	s_lshl_b32 s22, s8, 7
	s_add_i32 s8, s22, 0x80
	v_cvt_f64_u32_e32 v[2:3], s8
	s_waitcnt lgkmcnt(0)
	v_cvt_f64_i32_e32 v[4:5], s1
	v_min_f64 v[2:3], v[2:3], v[4:5]
	v_cvt_i32_f64_e32 v1, v[2:3]
	v_add_u32_e32 v2, s22, v0
	v_readfirstlane_b32 s23, v1
	v_cmp_lt_u32_e32 vcc, v2, v1
	s_and_saveexec_b64 s[8:9], vcc
	s_cbranch_execz .LBB15_4
; %bb.1:
	s_load_dwordx2 s[20:21], s[4:5], 0x40
	s_load_dwordx2 s[10:11], s[4:5], 0x0
	v_mov_b32_e32 v3, 0
	s_waitcnt lgkmcnt(0)
	s_cmp_eq_u64 s[20:21], 0
	s_cbranch_scc1 .LBB15_3
; %bb.2:
	v_lshlrev_b64 v[2:3], 2, v[2:3]
	v_mov_b32_e32 v1, s21
	v_add_co_u32_e32 v2, vcc, s20, v2
	v_addc_co_u32_e32 v3, vcc, v1, v3, vcc
	global_load_dword v2, v[2:3], off
	s_waitcnt vmcnt(0)
	v_ashrrev_i32_e32 v3, 31, v2
.LBB15_3:
	s_mul_i32 s4, s7, s1
	s_ashr_i32 s5, s4, 31
	s_lshl_b64 s[4:5], s[4:5], 1
	s_add_u32 s4, s10, s4
	s_addc_u32 s5, s11, s5
	v_lshlrev_b64 v[2:3], 1, v[2:3]
	v_mov_b32_e32 v1, s5
	v_add_co_u32_e32 v2, vcc, s4, v2
	v_addc_co_u32_e32 v3, vcc, v1, v3, vcc
	global_load_ushort v1, v[2:3], off
	v_lshlrev_b32_e32 v2, 1, v0
	s_waitcnt vmcnt(0)
	ds_write_b16 v2, v1
.LBB15_4:
	s_or_b64 exec, exec, s[8:9]
	v_lshlrev_b32_e32 v1, 2, v0
	v_lshl_add_u32 v4, s6, 9, v1
	v_cmp_gt_i32_e32 vcc, s0, v4
	s_and_saveexec_b64 s[4:5], vcc
	s_cbranch_execz .LBB15_14
; %bb.5:
	s_abs_i32 s5, s2
	v_cvt_f32_u32_e32 v1, s5
	s_mov_b32 s4, 0
	v_mov_b32_e32 v5, 0
	s_cmp_ge_i32 s22, s23
	v_rcp_iflag_f32_e32 v1, v1
	v_mov_b32_e32 v11, 0
	s_waitcnt lgkmcnt(0)
	s_barrier
	v_mul_f32_e32 v1, 0x4f7ffffe, v1
	v_cvt_u32_f32_e32 v1, v1
	v_readfirstlane_b32 s6, v1
	s_cbranch_scc1 .LBB15_10
; %bb.6:
	s_sub_i32 s9, 0, s5
	s_mul_i32 s9, s9, s6
	s_mul_hi_u32 s9, s6, s9
	s_ashr_i32 s8, s1, 31
	s_abs_i32 s1, s1
	s_add_i32 s6, s6, s9
	s_ashr_i32 s2, s2, 31
	s_mul_hi_u32 s6, s1, s6
	s_xor_b32 s2, s8, s2
	s_mul_i32 s8, s6, s5
	s_sub_i32 s1, s1, s8
	s_add_i32 s8, s6, 1
	s_sub_i32 s9, s1, s5
	s_cmp_ge_u32 s1, s5
	s_cselect_b32 s6, s8, s6
	s_cselect_b32 s1, s9, s1
	s_add_i32 s8, s6, 1
	s_cmp_ge_u32 s1, s5
	s_cselect_b32 s1, s8, s6
	s_xor_b32 s1, s1, s2
	s_sub_i32 s5, s1, s2
	v_cvt_f32_u32_e32 v1, s5
	s_bitcmp1_b32 s3, 0
	s_cselect_b64 s[2:3], -1, 0
	s_sub_i32 s1, 0, s5
	v_rcp_iflag_f32_e32 v1, v1
	s_xor_b64 s[2:3], s[2:3], -1
	v_ashrrev_i32_e32 v5, 31, v4
	v_lshrrev_b32_e32 v2, 28, v5
	v_mul_f32_e32 v1, 0x4f7ffffe, v1
	v_cvt_u32_f32_e32 v1, v1
	v_add_u32_e32 v2, v4, v2
	v_ashrrev_i32_e32 v10, 4, v2
	v_mov_b32_e32 v12, s15
	v_readfirstlane_b32 s6, v1
	s_mul_i32 s1, s1, s6
	s_mul_hi_u32 s1, s6, s1
	s_add_i32 s6, s6, s1
	s_mul_hi_u32 s1, s22, s6
	s_mul_i32 s6, s1, s5
	s_sub_i32 s6, s22, s6
	s_add_i32 s8, s1, 1
	s_sub_i32 s9, s6, s5
	s_cmp_ge_u32 s6, s5
	s_cselect_b32 s1, s8, s1
	s_cselect_b32 s6, s9, s6
	s_add_i32 s8, s1, 1
	s_cmp_ge_u32 s6, s5
	s_cselect_b32 s6, s8, s1
	s_mul_i32 s1, s6, s0
	s_ashr_i32 s8, s1, 31
	s_lshr_b32 s8, s8, 28
	v_add_u32_e32 v2, s1, v4
	s_add_i32 s1, s1, s8
	s_ashr_i32 s1, s1, 4
	v_add_u32_e32 v6, s1, v10
	v_ashrrev_i32_e32 v7, 31, v6
	v_lshlrev_b64 v[6:7], 2, v[6:7]
	v_ashrrev_i32_e32 v3, 31, v2
	v_add_co_u32_e32 v6, vcc, s14, v6
	v_lshlrev_b64 v[2:3], 1, v[2:3]
	v_addc_co_u32_e32 v7, vcc, v12, v7, vcc
	global_load_dword v16, v[6:7], off
	v_mov_b32_e32 v13, s17
	v_add_co_u32_e32 v2, vcc, s16, v2
	v_addc_co_u32_e32 v3, vcc, v13, v3, vcc
	global_load_dwordx2 v[6:7], v[2:3], off
	v_cndmask_b32_e64 v15, 0, 1, s[2:3]
	s_lshr_b32 s2, s22, 4
	s_mul_i32 s2, s2, s0
	s_ashr_i32 s3, s2, 31
	s_add_i32 s15, s5, s22
	s_ashr_i32 s1, s0, 31
	s_lshl_b64 s[2:3], s[2:3], 2
	s_add_u32 s12, s12, s2
	v_lshlrev_b32_e32 v2, 3, v0
	v_lshlrev_b64 v[0:1], 2, v[4:5]
	s_addc_u32 s13, s13, s3
	v_mov_b32_e32 v3, s13
	v_add_co_u32_e32 v0, vcc, s12, v0
	v_addc_co_u32_e32 v1, vcc, v3, v1, vcc
	v_and_b32_e32 v14, 24, v2
	v_add_co_u32_e32 v8, vcc, 8, v0
	v_mov_b32_e32 v11, 0
	s_movk_i32 s8, 0x3400
	s_movk_i32 s9, 0x2c00
	;; [unrolled: 1-line block ×3, first 2 shown]
	s_mov_b32 s11, 0x7060302
	s_lshl_b64 s[2:3], s[0:1], 2
	v_addc_co_u32_e32 v9, vcc, 0, v1, vcc
	v_mov_b32_e32 v5, 0
	s_waitcnt vmcnt(1)
	v_lshrrev_b32_e32 v0, v2, v16
	v_bfe_u32 v16, v16, v14, 2
	v_bfe_u32 v17, v0, 2, 2
	;; [unrolled: 1-line block ×4, first 2 shown]
	s_branch .LBB15_8
.LBB15_7:                               ;   in Loop: Header=BB15_8 Depth=1
	global_load_dwordx4 v[0:3], v[8:9], off offset:-8
	v_add_u32_e32 v20, v16, v15
	v_add_u32_e32 v21, v17, v15
	v_or_b32_e32 v24, 0xffffe400, v20
	v_cvt_f32_i32_e32 v20, v20
	v_or_b32_e32 v25, 0xffffe400, v21
	v_cvt_f32_i32_e32 v21, v21
	v_add_u32_e32 v22, v18, v15
	v_or_b32_e32 v26, 0xffffe400, v22
	v_cvt_f32_i32_e32 v22, v22
	v_cvt_f16_f32_e32 v20, v20
	v_cvt_f16_f32_e32 v21, v21
	v_add_u32_e32 v23, v19, v15
	v_or_b32_e32 v27, 0xffffe400, v23
	v_cvt_f32_i32_e32 v23, v23
	v_cvt_f16_f32_e32 v22, v22
	v_sub_f16_e32 v28, 0xdc00, v20
	v_sub_f16_e32 v30, 0xdc00, v21
	;; [unrolled: 1-line block ×6, first 2 shown]
	v_cvt_f16_f32_e32 v23, v23
	v_sub_f16_e32 v32, 0xdc00, v22
	v_sub_f16_e32 v33, 0xd400, v22
	;; [unrolled: 1-line block ×6, first 2 shown]
	s_add_i32 s22, s22, 16
	v_add_co_u32_e32 v8, vcc, s2, v8
	s_waitcnt vmcnt(0)
	v_and_b32_e32 v36, 0x30003, v0
	v_and_b32_e32 v37, 0xc000c, v0
	;; [unrolled: 1-line block ×4, first 2 shown]
	v_lshrrev_b32_e32 v0, 8, v0
	v_and_b32_e32 v40, 0x30003, v1
	v_and_b32_e32 v41, 0xc000c, v1
	;; [unrolled: 1-line block ×4, first 2 shown]
	v_lshrrev_b32_e32 v1, 8, v1
	v_and_b32_e32 v48, 0xc000c, v0
	v_and_b32_e32 v50, 0x30003, v1
	;; [unrolled: 1-line block ×5, first 2 shown]
	v_or_b32_e32 v37, 0x64006400, v37
	v_and_b32_e32 v47, 0x30003, v0
	v_and_b32_e32 v49, 0x300030, v0
	;; [unrolled: 1-line block ×3, first 2 shown]
	v_or_b32_e32 v48, 0x64006400, v48
	v_or_b32_e32 v1, 0x64006400, v1
	v_and_b32_e32 v44, 0x30003, v2
	v_and_b32_e32 v45, 0xc000c, v2
	;; [unrolled: 1-line block ×3, first 2 shown]
	v_or_b32_e32 v36, 0x64006400, v36
	v_or_b32_e32 v39, 0x64006400, v39
	;; [unrolled: 1-line block ×5, first 2 shown]
	v_pk_fma_f16 v37, v37, s8, v28 op_sel_hi:[1,0,0]
	v_pk_fma_f16 v28, v48, s8, v28 op_sel_hi:[1,0,0]
	;; [unrolled: 1-line block ×3, first 2 shown]
	v_and_b32_e32 v1, 0xc000c0, v2
	v_lshrrev_b32_e32 v2, 8, v2
	v_pk_add_f16 v36, v24, v36 op_sel_hi:[0,1]
	v_pk_fma_f16 v39, v39, s10, v20 op_sel_hi:[1,0,0]
	v_pk_fma_f16 v43, v43, s10, v21 op_sel_hi:[1,0,0]
	v_pk_add_f16 v24, v24, v47 op_sel_hi:[0,1]
	v_pk_fma_f16 v47, v0, s10, v20 op_sel_hi:[1,0,0]
	v_or_b32_e32 v0, 0x64006400, v46
	v_and_b32_e32 v20, 0x30003, v2
	v_and_b32_e32 v21, 0xc000c, v2
	v_and_b32_e32 v46, 0x300030, v2
	v_and_b32_e32 v2, 0xc000c0, v2
	v_or_b32_e32 v38, 0x64006400, v38
	v_or_b32_e32 v40, 0x64006400, v40
	;; [unrolled: 1-line block ×9, first 2 shown]
	v_pk_fma_f16 v38, v38, s9, v29 op_sel_hi:[1,0,0]
	v_pk_add_f16 v40, v25, v40 op_sel_hi:[0,1]
	v_pk_fma_f16 v29, v49, s9, v29 op_sel_hi:[1,0,0]
	v_pk_add_f16 v25, v25, v50 op_sel_hi:[0,1]
	v_pk_add_f16 v44, v26, v44 op_sel_hi:[0,1]
	v_pk_fma_f16 v49, v0, s9, v33 op_sel_hi:[1,0,0]
	v_pk_fma_f16 v50, v1, s10, v22 op_sel_hi:[1,0,0]
	v_pk_add_f16 v26, v26, v20 op_sel_hi:[0,1]
	v_pk_fma_f16 v33, v46, s9, v33 op_sel_hi:[1,0,0]
	v_pk_fma_f16 v46, v2, s10, v22 op_sel_hi:[1,0,0]
	v_and_b32_e32 v0, 0x30003, v3
	v_and_b32_e32 v1, 0xc000c, v3
	;; [unrolled: 1-line block ×4, first 2 shown]
	v_lshrrev_b32_e32 v3, 8, v3
	v_and_b32_e32 v22, 0xc000c, v3
	v_or_b32_e32 v1, 0x64006400, v1
	v_or_b32_e32 v22, 0x64006400, v22
	;; [unrolled: 1-line block ×5, first 2 shown]
	v_pk_fma_f16 v53, v1, s8, v34 op_sel_hi:[1,0,0]
	v_pk_fma_f16 v34, v22, s8, v34 op_sel_hi:[1,0,0]
	v_mov_b32_e32 v22, s4
	v_pk_fma_f16 v42, v42, s9, v31 op_sel_hi:[1,0,0]
	v_pk_fma_f16 v31, v52, s9, v31 op_sel_hi:[1,0,0]
	v_pk_add_f16 v52, v27, v0 op_sel_hi:[0,1]
	ds_read2_b32 v[0:1], v22 offset1:1
	v_or_b32_e32 v41, 0x64006400, v41
	v_or_b32_e32 v45, 0x64006400, v45
	;; [unrolled: 1-line block ×4, first 2 shown]
	v_pk_fma_f16 v41, v41, s8, v30 op_sel_hi:[1,0,0]
	v_pk_fma_f16 v30, v51, s8, v30 op_sel_hi:[1,0,0]
	;; [unrolled: 1-line block ×4, first 2 shown]
	v_and_b32_e32 v21, 0x30003, v3
	v_and_b32_e32 v51, 0x300030, v3
	;; [unrolled: 1-line block ×3, first 2 shown]
	v_or_b32_e32 v2, 0x64006400, v2
	v_or_b32_e32 v20, 0x64006400, v20
	;; [unrolled: 1-line block ×5, first 2 shown]
	v_pk_fma_f16 v54, v2, s9, v35 op_sel_hi:[1,0,0]
	v_pk_fma_f16 v55, v20, s10, v23 op_sel_hi:[1,0,0]
	v_pk_add_f16 v27, v27, v21 op_sel_hi:[0,1]
	v_pk_fma_f16 v35, v51, s9, v35 op_sel_hi:[1,0,0]
	v_pk_fma_f16 v51, v3, s10, v23 op_sel_hi:[1,0,0]
	ds_read2_b32 v[2:3], v22 offset0:2 offset1:3
	ds_read2_b32 v[20:21], v22 offset0:4 offset1:5
	ds_read2_b32 v[22:23], v22 offset0:6 offset1:7
	s_waitcnt lgkmcnt(3)
	v_pk_fma_f16 v36, v36, v0, 0
	v_pk_fma_f16 v36, v37, v1, v36
	s_waitcnt lgkmcnt(2)
	v_pk_fma_f16 v36, v38, v2, v36
	v_pk_fma_f16 v36, v39, v3, v36
	;; [unrolled: 3-line block ×3, first 2 shown]
	v_pk_fma_f16 v28, v40, v0, 0
	v_pk_fma_f16 v28, v41, v1, v28
	;; [unrolled: 1-line block ×6, first 2 shown]
	s_waitcnt lgkmcnt(0)
	v_pk_fma_f16 v24, v29, v22, v24
	v_pk_fma_f16 v25, v31, v22, v25
	v_pk_fma_f16 v24, v47, v23, v24
	v_pk_fma_f16 v25, v48, v23, v25
	v_pack_b32_f16 v28, v24, v25
	v_perm_b32 v24, v25, v24, s11
	v_pk_add_f16 v24, v28, v24
	v_pk_fma_f16 v5, v24, v6, v5
	v_pk_fma_f16 v24, v44, v0, 0
	;; [unrolled: 1-line block ×17, first 2 shown]
	v_pack_b32_f16 v1, v24, v0
	v_perm_b32 v0, v0, v24, s11
	v_pk_add_f16 v0, v1, v0
	v_pk_fma_f16 v11, v0, v7, v11
	v_mov_b32_e32 v0, s3
	s_add_i32 s4, s4, 32
	s_cmp_lt_i32 s22, s23
	v_addc_co_u32_e32 v9, vcc, v9, v0, vcc
	s_cbranch_scc0 .LBB15_10
.LBB15_8:                               ; =>This Inner Loop Header: Depth=1
	s_cmp_lg_u32 s22, s15
	s_cbranch_scc1 .LBB15_7
; %bb.9:                                ;   in Loop: Header=BB15_8 Depth=1
	s_add_i32 s6, s6, 1
	s_mul_i32 s1, s6, s0
	s_ashr_i32 s12, s1, 31
	s_lshr_b32 s12, s12, 28
	s_add_i32 s12, s1, s12
	s_ashr_i32 s12, s12, 4
	v_add_u32_e32 v0, s12, v10
	v_ashrrev_i32_e32 v1, 31, v0
	v_lshlrev_b64 v[0:1], 2, v[0:1]
	v_add_co_u32_e32 v0, vcc, s14, v0
	v_addc_co_u32_e32 v1, vcc, v12, v1, vcc
	global_load_dword v2, v[0:1], off
	v_add_u32_e32 v0, s1, v4
	v_ashrrev_i32_e32 v1, 31, v0
	v_lshlrev_b64 v[0:1], 1, v[0:1]
	v_add_co_u32_e32 v0, vcc, s16, v0
	v_addc_co_u32_e32 v1, vcc, v13, v1, vcc
	global_load_dwordx2 v[6:7], v[0:1], off
	s_add_i32 s15, s15, s5
	s_waitcnt vmcnt(1)
	v_lshrrev_b32_e32 v0, v14, v2
	v_bfe_u32 v16, v2, v14, 2
	v_bfe_u32 v17, v0, 2, 2
	;; [unrolled: 1-line block ×4, first 2 shown]
	s_branch .LBB15_7
.LBB15_10:
	s_mul_i32 s7, s7, s0
	v_add_u32_e32 v0, s7, v4
	v_ashrrev_i32_e32 v1, 31, v0
	v_lshlrev_b64 v[0:1], 1, v[0:1]
	v_mov_b32_e32 v2, s19
	v_add_co_u32_e32 v0, vcc, s18, v0
	v_addc_co_u32_e32 v1, vcc, v2, v1, vcc
	global_load_dword v3, v[0:1], off
	s_mov_b64 s[0:1], 0
.LBB15_11:                              ; =>This Inner Loop Header: Depth=1
	s_waitcnt vmcnt(0)
	v_pk_add_f16 v2, v5, v3
	global_atomic_cmpswap v2, v[0:1], v[2:3], off glc
	s_waitcnt vmcnt(0)
	v_cmp_eq_u32_e32 vcc, v3, v2
	s_or_b64 s[0:1], vcc, s[0:1]
	v_mov_b32_e32 v3, v2
	s_andn2_b64 exec, exec, s[0:1]
	s_cbranch_execnz .LBB15_11
; %bb.12:
	s_or_b64 exec, exec, s[0:1]
	global_load_dword v3, v[0:1], off offset:4
	s_mov_b64 s[0:1], 0
.LBB15_13:                              ; =>This Inner Loop Header: Depth=1
	s_waitcnt vmcnt(0)
	v_pk_add_f16 v2, v11, v3
	global_atomic_cmpswap v2, v[0:1], v[2:3], off offset:4 glc
	s_waitcnt vmcnt(0)
	v_cmp_eq_u32_e32 vcc, v3, v2
	s_or_b64 s[0:1], vcc, s[0:1]
	v_mov_b32_e32 v3, v2
	s_andn2_b64 exec, exec, s[0:1]
	s_cbranch_execnz .LBB15_13
.LBB15_14:
	s_endpgm
	.section	.rodata,"a",@progbits
	.p2align	6, 0x0
	.amdhsa_kernel _ZN4vllm4gptq33gemm_half_q_half_gptq_2bit_kernelILb1ELi1EEEvPK6__halfPKjS6_S4_PS2_iiiibPKi
		.amdhsa_group_segment_fixed_size 256
		.amdhsa_private_segment_fixed_size 0
		.amdhsa_kernarg_size 72
		.amdhsa_user_sgpr_count 6
		.amdhsa_user_sgpr_private_segment_buffer 1
		.amdhsa_user_sgpr_dispatch_ptr 0
		.amdhsa_user_sgpr_queue_ptr 0
		.amdhsa_user_sgpr_kernarg_segment_ptr 1
		.amdhsa_user_sgpr_dispatch_id 0
		.amdhsa_user_sgpr_flat_scratch_init 0
		.amdhsa_user_sgpr_kernarg_preload_length 0
		.amdhsa_user_sgpr_kernarg_preload_offset 0
		.amdhsa_user_sgpr_private_segment_size 0
		.amdhsa_uses_dynamic_stack 0
		.amdhsa_system_sgpr_private_segment_wavefront_offset 0
		.amdhsa_system_sgpr_workgroup_id_x 1
		.amdhsa_system_sgpr_workgroup_id_y 1
		.amdhsa_system_sgpr_workgroup_id_z 1
		.amdhsa_system_sgpr_workgroup_info 0
		.amdhsa_system_vgpr_workitem_id 0
		.amdhsa_next_free_vgpr 56
		.amdhsa_next_free_sgpr 24
		.amdhsa_accum_offset 56
		.amdhsa_reserve_vcc 1
		.amdhsa_reserve_flat_scratch 0
		.amdhsa_float_round_mode_32 0
		.amdhsa_float_round_mode_16_64 0
		.amdhsa_float_denorm_mode_32 3
		.amdhsa_float_denorm_mode_16_64 3
		.amdhsa_dx10_clamp 1
		.amdhsa_ieee_mode 1
		.amdhsa_fp16_overflow 0
		.amdhsa_tg_split 0
		.amdhsa_exception_fp_ieee_invalid_op 0
		.amdhsa_exception_fp_denorm_src 0
		.amdhsa_exception_fp_ieee_div_zero 0
		.amdhsa_exception_fp_ieee_overflow 0
		.amdhsa_exception_fp_ieee_underflow 0
		.amdhsa_exception_fp_ieee_inexact 0
		.amdhsa_exception_int_div_zero 0
	.end_amdhsa_kernel
	.section	.text._ZN4vllm4gptq33gemm_half_q_half_gptq_2bit_kernelILb1ELi1EEEvPK6__halfPKjS6_S4_PS2_iiiibPKi,"axG",@progbits,_ZN4vllm4gptq33gemm_half_q_half_gptq_2bit_kernelILb1ELi1EEEvPK6__halfPKjS6_S4_PS2_iiiibPKi,comdat
.Lfunc_end15:
	.size	_ZN4vllm4gptq33gemm_half_q_half_gptq_2bit_kernelILb1ELi1EEEvPK6__halfPKjS6_S4_PS2_iiiibPKi, .Lfunc_end15-_ZN4vllm4gptq33gemm_half_q_half_gptq_2bit_kernelILb1ELi1EEEvPK6__halfPKjS6_S4_PS2_iiiibPKi
                                        ; -- End function
	.section	.AMDGPU.csdata,"",@progbits
; Kernel info:
; codeLenInByte = 2396
; NumSgprs: 28
; NumVgprs: 56
; NumAgprs: 0
; TotalNumVgprs: 56
; ScratchSize: 0
; MemoryBound: 0
; FloatMode: 240
; IeeeMode: 1
; LDSByteSize: 256 bytes/workgroup (compile time only)
; SGPRBlocks: 3
; VGPRBlocks: 6
; NumSGPRsForWavesPerEU: 28
; NumVGPRsForWavesPerEU: 56
; AccumOffset: 56
; Occupancy: 8
; WaveLimiterHint : 0
; COMPUTE_PGM_RSRC2:SCRATCH_EN: 0
; COMPUTE_PGM_RSRC2:USER_SGPR: 6
; COMPUTE_PGM_RSRC2:TRAP_HANDLER: 0
; COMPUTE_PGM_RSRC2:TGID_X_EN: 1
; COMPUTE_PGM_RSRC2:TGID_Y_EN: 1
; COMPUTE_PGM_RSRC2:TGID_Z_EN: 1
; COMPUTE_PGM_RSRC2:TIDIG_COMP_CNT: 0
; COMPUTE_PGM_RSRC3_GFX90A:ACCUM_OFFSET: 13
; COMPUTE_PGM_RSRC3_GFX90A:TG_SPLIT: 0
	.section	.text._ZN4vllm4gptq33gemm_half_q_half_gptq_3bit_kernelILb1ELi1EEEvPK6__halfPKjS6_S4_PS2_iiiibPKi,"axG",@progbits,_ZN4vllm4gptq33gemm_half_q_half_gptq_3bit_kernelILb1ELi1EEEvPK6__halfPKjS6_S4_PS2_iiiibPKi,comdat
	.protected	_ZN4vllm4gptq33gemm_half_q_half_gptq_3bit_kernelILb1ELi1EEEvPK6__halfPKjS6_S4_PS2_iiiibPKi ; -- Begin function _ZN4vllm4gptq33gemm_half_q_half_gptq_3bit_kernelILb1ELi1EEEvPK6__halfPKjS6_S4_PS2_iiiibPKi
	.globl	_ZN4vllm4gptq33gemm_half_q_half_gptq_3bit_kernelILb1ELi1EEEvPK6__halfPKjS6_S4_PS2_iiiibPKi
	.p2align	8
	.type	_ZN4vllm4gptq33gemm_half_q_half_gptq_3bit_kernelILb1ELi1EEEvPK6__halfPKjS6_S4_PS2_iiiibPKi,@function
_ZN4vllm4gptq33gemm_half_q_half_gptq_3bit_kernelILb1ELi1EEEvPK6__halfPKjS6_S4_PS2_iiiibPKi: ; @_ZN4vllm4gptq33gemm_half_q_half_gptq_3bit_kernelILb1ELi1EEEvPK6__halfPKjS6_S4_PS2_iiiibPKi
; %bb.0:
	s_load_dwordx4 s[20:23], s[4:5], 0x2c
	s_load_dwordx8 s[12:19], s[4:5], 0x8
	s_lshl_b32 s26, s8, 7
	s_add_i32 s0, s26, 0x80
	v_cvt_f64_u32_e32 v[2:3], s0
	s_waitcnt lgkmcnt(0)
	v_cvt_f64_i32_e32 v[4:5], s21
	v_min_f64 v[2:3], v[2:3], v[4:5]
	v_cvt_i32_f64_e32 v1, v[2:3]
	v_add_u32_e32 v2, s26, v0
	v_readfirstlane_b32 s27, v1
	v_cmp_lt_u32_e32 vcc, v2, v1
	s_and_saveexec_b64 s[0:1], vcc
	s_cbranch_execz .LBB16_4
; %bb.1:
	s_load_dwordx2 s[8:9], s[4:5], 0x40
	s_load_dwordx2 s[2:3], s[4:5], 0x0
	v_mov_b32_e32 v3, 0
	s_waitcnt lgkmcnt(0)
	s_cmp_eq_u64 s[8:9], 0
	s_cbranch_scc1 .LBB16_3
; %bb.2:
	v_lshlrev_b64 v[2:3], 2, v[2:3]
	v_mov_b32_e32 v1, s9
	v_add_co_u32_e32 v2, vcc, s8, v2
	v_addc_co_u32_e32 v3, vcc, v1, v3, vcc
	global_load_dword v2, v[2:3], off
	s_waitcnt vmcnt(0)
	v_ashrrev_i32_e32 v3, 31, v2
.LBB16_3:
	s_mul_i32 s4, s7, s21
	s_ashr_i32 s5, s4, 31
	s_lshl_b64 s[4:5], s[4:5], 1
	s_add_u32 s2, s2, s4
	s_addc_u32 s3, s3, s5
	v_lshlrev_b64 v[2:3], 1, v[2:3]
	v_mov_b32_e32 v1, s3
	v_add_co_u32_e32 v2, vcc, s2, v2
	v_addc_co_u32_e32 v3, vcc, v1, v3, vcc
	global_load_ushort v1, v[2:3], off
	v_lshlrev_b32_e32 v2, 1, v0
	s_waitcnt vmcnt(0)
	ds_write_b16 v2, v1
.LBB16_4:
	s_or_b64 exec, exec, s[0:1]
	v_lshlrev_b32_e32 v0, 2, v0
	v_lshl_add_u32 v12, s6, 9, v0
	v_cmp_gt_i32_e32 vcc, s20, v12
	s_and_saveexec_b64 s[0:1], vcc
	s_cbranch_execz .LBB16_46
; %bb.5:
	s_abs_i32 s0, s22
	v_cvt_f32_u32_e32 v1, s0
	s_sub_i32 s3, 0, s0
	s_abs_i32 s2, s21
	s_xor_b32 s1, s21, s22
	v_rcp_iflag_f32_e32 v1, v1
	s_ashr_i32 s1, s1, 31
	v_and_b32_e32 v2, 28, v0
	v_cmp_lt_u32_e32 vcc, 4, v2
	v_mul_f32_e32 v1, 0x4f7ffffe, v1
	v_cvt_u32_f32_e32 v1, v1
	s_waitcnt lgkmcnt(0)
	s_barrier
	v_readfirstlane_b32 s4, v1
	s_mul_i32 s3, s3, s4
	s_mul_hi_u32 s3, s4, s3
	s_add_i32 s4, s4, s3
	s_mul_hi_u32 s3, s2, s4
	s_mul_i32 s4, s3, s0
	s_sub_i32 s2, s2, s4
	s_add_i32 s5, s3, 1
	s_sub_i32 s4, s2, s0
	s_cmp_ge_u32 s2, s0
	s_cselect_b32 s3, s5, s3
	s_cselect_b32 s2, s4, s2
	s_add_i32 s4, s3, 1
	s_cmp_ge_u32 s2, s0
	s_cselect_b32 s0, s4, s3
	s_xor_b32 s0, s0, s1
	s_sub_i32 s6, s0, s1
	v_cvt_f32_u32_e32 v1, s6
	s_sub_i32 s0, 0, s6
                                        ; implicit-def: $vgpr3
	v_rcp_iflag_f32_e32 v1, v1
	v_mul_f32_e32 v1, 0x4f7ffffe, v1
	v_cvt_u32_f32_e32 v1, v1
	v_readfirstlane_b32 s1, v1
	s_mul_i32 s0, s0, s1
	s_mul_hi_u32 s0, s1, s0
	s_add_i32 s1, s1, s0
	s_mul_hi_u32 s0, s26, s1
	s_mul_i32 s1, s0, s6
	s_sub_i32 s1, s26, s1
	s_add_i32 s2, s0, 1
	s_sub_i32 s3, s1, s6
	s_cmp_ge_u32 s1, s6
	s_cselect_b32 s0, s2, s0
	s_cselect_b32 s1, s3, s1
	s_add_i32 s2, s0, 1
	s_cmp_ge_u32 s1, s6
	s_cselect_b32 s28, s2, s0
	s_mul_i32 s10, s28, s20
	s_and_saveexec_b64 s[0:1], vcc
	s_xor_b64 s[2:3], exec, s[0:1]
	s_cbranch_execz .LBB16_19
; %bb.6:
	v_cmp_ne_u32_e64 s[0:1], 8, v2
                                        ; implicit-def: $vgpr3
	s_and_saveexec_b64 s[4:5], s[0:1]
	s_xor_b64 s[4:5], exec, s[4:5]
	s_cbranch_execz .LBB16_16
; %bb.7:
	v_cmp_lt_u32_e64 s[0:1], 16, v2
                                        ; implicit-def: $vgpr3
	s_and_saveexec_b64 s[8:9], s[0:1]
	s_xor_b64 s[8:9], exec, s[8:9]
	s_cbranch_execz .LBB16_13
; %bb.8:
	v_lshl_add_u32 v0, v12, 1, v12
	s_ashr_i32 s0, s10, 31
	v_ashrrev_i32_e32 v1, 31, v0
	s_lshr_b32 s0, s0, 27
	v_lshrrev_b32_e32 v1, 27, v1
	s_add_i32 s0, s10, s0
	v_add_u32_e32 v0, v0, v1
	s_ashr_i32 s0, s0, 5
	v_ashrrev_i32_e32 v0, 5, v0
	v_mad_u64_u32 v[0:1], s[0:1], s0, 3, v[0:1]
	v_ashrrev_i32_e32 v1, 31, v0
	v_lshlrev_b64 v[0:1], 2, v[0:1]
	v_mov_b32_e32 v3, s15
	v_add_co_u32_e64 v0, s[0:1], s14, v0
	v_addc_co_u32_e64 v1, s[0:1], v3, v1, s[0:1]
	global_load_dword v4, v[0:1], off
	v_cmp_ne_u32_e64 s[0:1], 20, v2
                                        ; implicit-def: $vgpr3
	s_and_saveexec_b64 s[24:25], s[0:1]
	s_xor_b64 s[0:1], exec, s[24:25]
	s_cbranch_execz .LBB16_10
; %bb.9:
	v_not_b32_e32 v0, 63
	v_mad_u32_u24 v0, v2, 3, v0
	s_waitcnt vmcnt(0)
	v_lshrrev_b32_e32 v3, v0, v4
                                        ; implicit-def: $vgpr0_vgpr1
                                        ; implicit-def: $vgpr4
.LBB16_10:
	s_andn2_saveexec_b64 s[0:1], s[0:1]
	s_cbranch_execz .LBB16_12
; %bb.11:
	global_load_dword v0, v[0:1], off offset:4
	s_waitcnt vmcnt(0)
	v_alignbit_b32 v0, v0, v4, 28
	v_and_b32_e32 v3, 0xfff, v0
.LBB16_12:
	s_or_b64 exec, exec, s[0:1]
.LBB16_13:
	s_andn2_saveexec_b64 s[8:9], s[8:9]
	s_cbranch_execz .LBB16_15
; %bb.14:
	v_lshl_add_u32 v0, v12, 1, v12
	s_ashr_i32 s0, s10, 31
	v_ashrrev_i32_e32 v1, 31, v0
	s_lshr_b32 s0, s0, 27
	v_lshrrev_b32_e32 v1, 27, v1
	s_add_i32 s0, s10, s0
	v_add_u32_e32 v0, v0, v1
	s_ashr_i32 s0, s0, 5
	v_ashrrev_i32_e32 v0, 5, v0
	v_mad_u64_u32 v[0:1], s[0:1], s0, 3, v[0:1]
	v_ashrrev_i32_e32 v1, 31, v0
	v_lshlrev_b64 v[0:1], 2, v[0:1]
	v_mov_b32_e32 v3, s15
	v_add_co_u32_e64 v0, s[0:1], s14, v0
	v_addc_co_u32_e64 v1, s[0:1], v3, v1, s[0:1]
	global_load_dword v0, v[0:1], off
	v_not_b32_e32 v1, 31
	v_mad_u32_u24 v1, v2, 3, v1
	s_waitcnt vmcnt(0)
	v_lshrrev_b32_e32 v3, v1, v0
.LBB16_15:
	s_or_b64 exec, exec, s[8:9]
.LBB16_16:
	s_andn2_saveexec_b64 s[4:5], s[4:5]
	s_cbranch_execz .LBB16_18
; %bb.17:
	v_lshl_add_u32 v0, v12, 1, v12
	s_ashr_i32 s0, s10, 31
	v_ashrrev_i32_e32 v1, 31, v0
	s_lshr_b32 s0, s0, 27
	v_lshrrev_b32_e32 v1, 27, v1
	s_add_i32 s0, s10, s0
	v_add_u32_e32 v0, v0, v1
	s_ashr_i32 s0, s0, 5
	v_ashrrev_i32_e32 v0, 5, v0
	v_mad_u64_u32 v[0:1], s[0:1], s0, 3, v[0:1]
	v_ashrrev_i32_e32 v1, 31, v0
	v_lshlrev_b64 v[0:1], 2, v[0:1]
	v_mov_b32_e32 v3, s15
	v_add_co_u32_e64 v0, s[0:1], s14, v0
	v_addc_co_u32_e64 v1, s[0:1], v3, v1, s[0:1]
	global_load_dwordx2 v[0:1], v[0:1], off
	s_mov_b32 s0, 0x2010007
	s_waitcnt vmcnt(0)
	v_perm_b32 v0, v0, v1, s0
	v_and_b32_e32 v3, 0xfff, v0
.LBB16_18:
	s_or_b64 exec, exec, s[4:5]
.LBB16_19:
	s_or_saveexec_b64 s[2:3], s[2:3]
	v_lshl_add_u32 v0, v12, 1, v12
	v_ashrrev_i32_e32 v1, 31, v0
	v_mul_u32_u24_e32 v15, 3, v2
	s_xor_b64 exec, exec, s[2:3]
	s_cbranch_execz .LBB16_21
; %bb.20:
	s_ashr_i32 s0, s10, 31
	s_lshr_b32 s0, s0, 27
	v_lshrrev_b32_e32 v3, 27, v1
	s_add_i32 s0, s10, s0
	v_add_u32_e32 v3, v0, v3
	s_ashr_i32 s0, s0, 5
	s_waitcnt vmcnt(0)
	v_ashrrev_i32_e32 v4, 5, v3
	v_mad_u64_u32 v[4:5], s[0:1], s0, 3, v[4:5]
	v_ashrrev_i32_e32 v5, 31, v4
	v_lshlrev_b64 v[4:5], 2, v[4:5]
	v_mov_b32_e32 v3, s15
	v_add_co_u32_e64 v4, s[0:1], s14, v4
	v_addc_co_u32_e64 v5, s[0:1], v3, v5, s[0:1]
	global_load_dword v3, v[4:5], off
	s_waitcnt vmcnt(0)
	v_lshrrev_b32_e32 v3, v15, v3
.LBB16_21:
	s_or_b64 exec, exec, s[2:3]
	s_cmp_ge_i32 s26, s27
	v_mov_b32_e32 v21, 0
	v_mov_b32_e32 v13, 0
	s_cbranch_scc1 .LBB16_42
; %bb.22:
	s_waitcnt vmcnt(0)
	v_add_u32_e32 v4, s10, v12
	v_ashrrev_i32_e32 v5, 31, v4
	v_lshlrev_b64 v[4:5], 1, v[4:5]
	v_mov_b32_e32 v6, s17
	v_add_co_u32_e64 v4, s[0:1], s16, v4
	v_addc_co_u32_e64 v5, s[0:1], v6, v5, s[0:1]
	global_load_dwordx2 v[18:19], v[4:5], off
	s_lshr_b32 s0, s26, 5
	s_mul_i32 s0, s0, s20
	s_mul_i32 s8, s0, 3
	s_add_i32 s29, s6, s26
	s_ashr_i32 s9, s8, 31
	s_bitcmp1_b32 s23, 0
	v_lshrrev_b32_e32 v1, 27, v1
	s_cselect_b64 s[0:1], -1, 0
	v_add_u32_e32 v0, v0, v1
	s_xor_b64 s[0:1], s[0:1], -1
	v_ashrrev_i32_e32 v14, 5, v0
	v_not_b32_e32 v0, 63
	s_ashr_i32 s21, s20, 31
	s_lshl_b64 s[8:9], s[8:9], 2
	v_ashrrev_i32_e32 v13, 31, v12
	v_mad_u32_u24 v22, v2, 3, v0
	v_not_b32_e32 v0, 31
	s_add_u32 s8, s12, s8
	v_mad_u32_u24 v23, v2, 3, v0
	v_lshlrev_b64 v[0:1], 2, v[12:13]
	s_addc_u32 s9, s13, s9
	v_cndmask_b32_e64 v20, 0, 1, s[0:1]
	v_cmp_ne_u32_e64 s[0:1], 8, v2
	v_cmp_lt_u32_e64 s[2:3], 16, v2
	v_cmp_ne_u32_e64 s[4:5], 20, v2
	v_mov_b32_e32 v2, s9
	v_add_co_u32_e64 v16, s[8:9], s8, v0
	v_and_b32_e32 v24, 7, v3
	v_bfe_u32 v25, v3, 3, 3
	v_bfe_u32 v26, v3, 6, 3
	;; [unrolled: 1-line block ×3, first 2 shown]
	v_addc_co_u32_e64 v17, s[8:9], v2, v1, s[8:9]
	s_mul_hi_i32 s30, s20, 12
	s_mul_i32 s31, s20, 12
	s_lshl_b64 s[10:11], s[20:21], 2
	s_mov_b32 s21, 0
	v_mov_b32_e32 v13, 0
	s_mov_b32 s33, 0x2010007
	s_mov_b32 s34, 0x64006400
	;; [unrolled: 1-line block ×3, first 2 shown]
	s_movk_i32 s36, 0x3000
	s_movk_i32 s37, 0x2400
	s_mov_b32 s38, 0x7060302
	v_mov_b32_e32 v21, 0
	s_branch .LBB16_25
.LBB16_23:                              ;   in Loop: Header=BB16_25 Depth=1
	s_or_b64 exec, exec, s[8:9]
	v_add_u32_e32 v0, s39, v12
	v_ashrrev_i32_e32 v1, 31, v0
	v_lshlrev_b64 v[0:1], 1, v[0:1]
	s_waitcnt vmcnt(0)
	v_mov_b32_e32 v3, s17
	v_add_co_u32_e64 v0, s[8:9], s16, v0
	v_addc_co_u32_e64 v1, s[8:9], v3, v1, s[8:9]
	global_load_dwordx2 v[18:19], v[0:1], off
	s_add_i32 s29, s29, s6
	v_and_b32_e32 v24, 7, v2
	v_bfe_u32 v25, v2, 3, 3
	v_bfe_u32 v26, v2, 6, 3
	;; [unrolled: 1-line block ×3, first 2 shown]
.LBB16_24:                              ;   in Loop: Header=BB16_25 Depth=1
	v_mov_b32_e32 v2, s11
	v_add_co_u32_e64 v0, s[8:9], s10, v16
	v_addc_co_u32_e64 v1, s[8:9], v17, v2, s[8:9]
	global_load_dwordx4 v[8:11], v[16:17], off
	global_load_dwordx4 v[4:7], v[0:1], off
	v_add_co_u32_e64 v0, s[8:9], s10, v0
	v_addc_co_u32_e64 v1, s[8:9], v1, v2, s[8:9]
	global_load_dwordx4 v[0:3], v[0:1], off
	v_add_u32_e32 v28, v24, v20
	v_cvt_f32_i32_e32 v29, v28
	v_mov_b32_e32 v90, s21
	s_add_i32 s26, s26, 32
	s_add_i32 s21, s21, 64
	v_cvt_f16_f32_e32 v29, v29
	v_add_co_u32_e64 v16, s[8:9], s31, v16
	s_cmp_lt_i32 s26, s27
	v_sub_f16_e32 v30, 0xd800, v29
	v_sub_f16_e32 v29, 0xcc00, v29
	s_waitcnt vmcnt(2)
	v_and_b32_e32 v31, 0x70007, v8
	s_waitcnt vmcnt(1)
	v_and_b32_e32 v45, 0x70007, v4
	v_and_b32_e32 v46, 0x380038, v4
	v_lshrrev_b32_e32 v47, 6, v4
	v_lshrrev_b32_e32 v4, 14, v4
	v_and_b32_e32 v32, 0x380038, v8
	v_lshrrev_b32_e32 v33, 6, v8
	v_lshrrev_b32_e32 v8, 15, v8
	s_waitcnt vmcnt(0)
	v_and_b32_e32 v57, 0x70007, v0
	v_and_b32_e32 v58, 0x380038, v0
	v_lshrrev_b32_e32 v59, 6, v0
	v_lshrrev_b32_e32 v0, 13, v0
	v_and_b32_e32 v4, 0x20002, v4
	v_and_b32_e32 v69, 0x380038, v47
	v_and_or_b32 v4, v8, s35, v4
	v_and_b32_e32 v0, 0x40004, v0
	v_or_b32_e32 v8, 0x64006400, v69
	v_and_b32_e32 v69, 0x380038, v59
	v_and_b32_e32 v43, 0x380038, v33
	v_and_b32_e32 v44, 0x1c001c0, v33
	v_and_b32_e32 v70, 0x1c001c0, v47
	v_or3_b32 v0, v4, v0, s34
	v_or_b32_e32 v4, 0x64006400, v69
	v_pk_fma_f16 v69, v8, s36, v30 op_sel_hi:[1,0,0]
	v_and_b32_e32 v8, 0x1c001c0, v59
	v_or_b32_e32 v32, 0x64006400, v32
	v_or_b32_e32 v43, 0x64006400, v43
	;; [unrolled: 1-line block ×5, first 2 shown]
	v_pk_fma_f16 v71, v4, s36, v30 op_sel_hi:[1,0,0]
	v_or_b32_e32 v4, 0x64006400, v70
	v_or_b32_e32 v8, 0x64006400, v8
	v_pk_fma_f16 v32, v32, s36, v30 op_sel_hi:[1,0,0]
	v_pk_fma_f16 v43, v43, s36, v30 op_sel_hi:[1,0,0]
	;; [unrolled: 1-line block ×7, first 2 shown]
	v_or_b32_e32 v4, 0xffffe400, v28
	v_or_b32_e32 v8, 0x64006400, v31
	v_and_b32_e32 v28, 0x70007, v33
	v_or_b32_e32 v29, 0x64006400, v45
	v_and_b32_e32 v31, 0x70007, v47
	v_and_b32_e32 v45, 0x70007, v59
	v_or_b32_e32 v28, 0x64006400, v28
	v_or_b32_e32 v31, 0x64006400, v31
	;; [unrolled: 1-line block ×4, first 2 shown]
	v_and_b32_e32 v48, 0x70007, v5
	v_and_b32_e32 v49, 0x380038, v5
	v_lshrrev_b32_e32 v50, 6, v5
	v_lshrrev_b32_e32 v5, 14, v5
	v_pk_add_f16 v8, v4, v8 op_sel_hi:[0,1]
	v_pk_add_f16 v28, v4, v28 op_sel_hi:[0,1]
	v_pk_add_f16 v29, v4, v29 op_sel_hi:[0,1]
	v_pk_add_f16 v31, v4, v31 op_sel_hi:[0,1]
	v_pk_add_f16 v33, v4, v33 op_sel_hi:[0,1]
	v_pk_add_f16 v45, v4, v45 op_sel_hi:[0,1]
	v_pk_add_f16 v47, v4, v0 op_sel_hi:[0,1]
	v_add_u32_e32 v4, v25, v20
	v_and_b32_e32 v0, 0x20002, v5
	v_cvt_f32_i32_e32 v5, v4
	v_and_b32_e32 v34, 0x70007, v9
	v_and_b32_e32 v35, 0x380038, v9
	v_lshrrev_b32_e32 v36, 6, v9
	v_lshrrev_b32_e32 v9, 15, v9
	v_and_b32_e32 v60, 0x70007, v1
	v_and_b32_e32 v61, 0x380038, v1
	v_lshrrev_b32_e32 v62, 6, v1
	v_lshrrev_b32_e32 v1, 13, v1
	v_and_or_b32 v0, v9, s35, v0
	v_and_b32_e32 v1, 0x40004, v1
	v_or3_b32 v0, v0, v1, s34
	v_cvt_f16_f32_e32 v1, v5
	v_or_b32_e32 v5, 0x64006400, v35
	v_and_b32_e32 v9, 0x380038, v36
	v_or_b32_e32 v35, 0x64006400, v49
	v_and_b32_e32 v49, 0x380038, v50
	v_and_b32_e32 v59, 0x380038, v62
	v_or_b32_e32 v9, 0x64006400, v9
	v_or_b32_e32 v49, 0x64006400, v49
	;; [unrolled: 1-line block ×4, first 2 shown]
	v_sub_f16_e32 v61, 0xd800, v1
	v_pk_fma_f16 v72, v5, s36, v61 op_sel_hi:[1,0,0]
	v_pk_fma_f16 v73, v9, s36, v61 op_sel_hi:[1,0,0]
	;; [unrolled: 1-line block ×6, first 2 shown]
	v_and_b32_e32 v5, 0x1c001c0, v36
	v_and_b32_e32 v9, 0x1c001c0, v50
	;; [unrolled: 1-line block ×3, first 2 shown]
	v_sub_f16_e32 v1, 0xcc00, v1
	v_or_b32_e32 v5, 0x64006400, v5
	v_or_b32_e32 v9, 0x64006400, v9
	v_or_b32_e32 v61, 0x64006400, v61
	v_pk_fma_f16 v74, v5, s37, v1 op_sel_hi:[1,0,0]
	v_pk_fma_f16 v75, v9, s37, v1 op_sel_hi:[1,0,0]
	;; [unrolled: 1-line block ×3, first 2 shown]
	v_or_b32_e32 v1, 0xffffe400, v4
	v_or_b32_e32 v4, 0x64006400, v34
	v_and_b32_e32 v5, 0x70007, v36
	v_or_b32_e32 v9, 0x64006400, v48
	v_and_b32_e32 v34, 0x70007, v50
	v_and_b32_e32 v48, 0x70007, v62
	v_or_b32_e32 v5, 0x64006400, v5
	v_or_b32_e32 v34, 0x64006400, v34
	;; [unrolled: 1-line block ×4, first 2 shown]
	v_pk_add_f16 v50, v1, v4 op_sel_hi:[0,1]
	v_pk_add_f16 v60, v1, v5 op_sel_hi:[0,1]
	;; [unrolled: 1-line block ×7, first 2 shown]
	v_add_u32_e32 v1, v26, v20
	v_cvt_f32_i32_e32 v4, v1
	v_and_b32_e32 v51, 0x70007, v6
	v_and_b32_e32 v52, 0x380038, v6
	v_lshrrev_b32_e32 v53, 6, v6
	v_lshrrev_b32_e32 v6, 14, v6
	v_and_b32_e32 v37, 0x70007, v10
	v_and_b32_e32 v38, 0x380038, v10
	v_lshrrev_b32_e32 v39, 6, v10
	v_lshrrev_b32_e32 v10, 15, v10
	;; [unrolled: 4-line block ×3, first 2 shown]
	v_and_b32_e32 v0, 0x20002, v6
	v_and_or_b32 v0, v10, s35, v0
	v_and_b32_e32 v2, 0x40004, v2
	v_or3_b32 v0, v0, v2, s34
	v_cvt_f16_f32_e32 v2, v4
	v_or_b32_e32 v4, 0x64006400, v38
	v_and_b32_e32 v5, 0x380038, v39
	v_or_b32_e32 v6, 0x64006400, v52
	v_sub_f16_e32 v52, 0xd800, v2
	v_or_b32_e32 v5, 0x64006400, v5
	v_and_b32_e32 v9, 0x380038, v53
	v_or_b32_e32 v10, 0x64006400, v64
	v_and_b32_e32 v38, 0x380038, v65
	v_pk_fma_f16 v64, v4, s36, v52 op_sel_hi:[1,0,0]
	v_pk_fma_f16 v78, v6, s36, v52 op_sel_hi:[1,0,0]
	v_and_b32_e32 v4, 0x1c001c0, v39
	v_and_b32_e32 v6, 0x1c001c0, v65
	v_or_b32_e32 v9, 0x64006400, v9
	v_or_b32_e32 v38, 0x64006400, v38
	v_pk_fma_f16 v77, v5, s36, v52 op_sel_hi:[1,0,0]
	v_sub_f16_e32 v2, 0xcc00, v2
	v_or_b32_e32 v4, 0x64006400, v4
	v_and_b32_e32 v5, 0x1c001c0, v53
	v_or_b32_e32 v6, 0x64006400, v6
	v_pk_fma_f16 v79, v9, s36, v52 op_sel_hi:[1,0,0]
	v_pk_fma_f16 v80, v10, s36, v52 op_sel_hi:[1,0,0]
	v_pk_fma_f16 v38, v38, s36, v52 op_sel_hi:[1,0,0]
	v_or_b32_e32 v5, 0x64006400, v5
	v_pk_fma_f16 v52, v4, s37, v2 op_sel_hi:[1,0,0]
	v_pk_fma_f16 v82, v6, s37, v2 op_sel_hi:[1,0,0]
	v_and_b32_e32 v4, 0x70007, v39
	v_and_b32_e32 v6, 0x70007, v53
	;; [unrolled: 1-line block ×3, first 2 shown]
	v_pk_fma_f16 v81, v5, s37, v2 op_sel_hi:[1,0,0]
	v_or_b32_e32 v1, 0xffffe400, v1
	v_or_b32_e32 v2, 0x64006400, v37
	;; [unrolled: 1-line block ×7, first 2 shown]
	v_pk_add_f16 v37, v1, v2 op_sel_hi:[0,1]
	v_pk_add_f16 v39, v1, v4 op_sel_hi:[0,1]
	;; [unrolled: 1-line block ×7, first 2 shown]
	v_add_u32_e32 v1, v27, v20
	v_cvt_f32_i32_e32 v2, v1
	v_and_b32_e32 v54, 0x70007, v7
	v_and_b32_e32 v55, 0x380038, v7
	v_lshrrev_b32_e32 v56, 6, v7
	v_lshrrev_b32_e32 v7, 14, v7
	v_and_b32_e32 v40, 0x70007, v11
	v_and_b32_e32 v41, 0x380038, v11
	v_lshrrev_b32_e32 v42, 6, v11
	v_lshrrev_b32_e32 v11, 15, v11
	;; [unrolled: 4-line block ×3, first 2 shown]
	v_and_b32_e32 v0, 0x20002, v7
	v_and_or_b32 v0, v11, s35, v0
	v_and_b32_e32 v3, 0x40004, v3
	v_or3_b32 v3, v0, v3, s34
	v_cvt_f16_f32_e32 v0, v2
	v_or_b32_e32 v2, 0x64006400, v41
	v_and_b32_e32 v4, 0x380038, v42
	v_or_b32_e32 v4, 0x64006400, v4
	v_sub_f16_e32 v10, 0xd800, v0
	v_or_b32_e32 v5, 0x64006400, v55
	v_pk_fma_f16 v41, v2, s36, v10 op_sel_hi:[1,0,0]
	v_and_b32_e32 v2, 0x1c001c0, v42
	v_or_b32_e32 v7, 0x64006400, v67
	v_pk_fma_f16 v55, v4, s36, v10 op_sel_hi:[1,0,0]
	v_pk_fma_f16 v67, v5, s36, v10 op_sel_hi:[1,0,0]
	v_sub_f16_e32 v0, 0xcc00, v0
	v_or_b32_e32 v2, 0x64006400, v2
	v_and_b32_e32 v4, 0x1c001c0, v56
	v_and_b32_e32 v5, 0x1c001c0, v68
	v_or_b32_e32 v4, 0x64006400, v4
	v_or_b32_e32 v5, 0x64006400, v5
	v_pk_fma_f16 v87, v2, s37, v0 op_sel_hi:[1,0,0]
	v_or_b32_e32 v2, 0xffffe400, v1
	v_and_b32_e32 v1, 0x70007, v42
	v_pk_fma_f16 v88, v4, s37, v0 op_sel_hi:[1,0,0]
	v_pk_fma_f16 v89, v5, s37, v0 op_sel_hi:[1,0,0]
	v_or_b32_e32 v0, 0x64006400, v40
	v_or_b32_e32 v1, 0x64006400, v1
	v_pk_add_f16 v40, v2, v0 op_sel_hi:[0,1]
	v_pk_add_f16 v42, v2, v1 op_sel_hi:[0,1]
	ds_read2_b32 v[0:1], v90 offset1:1
	v_and_b32_e32 v6, 0x380038, v56
	v_or_b32_e32 v6, 0x64006400, v6
	v_pk_fma_f16 v85, v7, s36, v10 op_sel_hi:[1,0,0]
	v_and_b32_e32 v5, 0x70007, v56
	v_and_b32_e32 v7, 0x70007, v68
	v_pk_fma_f16 v84, v6, s36, v10 op_sel_hi:[1,0,0]
	v_or_b32_e32 v4, 0x64006400, v54
	v_or_b32_e32 v5, 0x64006400, v5
	;; [unrolled: 1-line block ×4, first 2 shown]
	v_and_b32_e32 v9, 0x380038, v68
	v_pk_add_f16 v54, v2, v4 op_sel_hi:[0,1]
	v_pk_add_f16 v56, v2, v5 op_sel_hi:[0,1]
	v_pk_add_f16 v66, v2, v6 op_sel_hi:[0,1]
	v_pk_add_f16 v68, v2, v7 op_sel_hi:[0,1]
	v_pk_add_f16 v91, v2, v3 op_sel_hi:[0,1]
	ds_read2_b32 v[2:3], v90 offset0:2 offset1:3
	ds_read2_b32 v[4:5], v90 offset0:4 offset1:5
	;; [unrolled: 1-line block ×3, first 2 shown]
	s_waitcnt lgkmcnt(3)
	v_pk_fma_f16 v8, v8, v0, 0
	v_pk_fma_f16 v8, v32, v1, v8
	s_waitcnt lgkmcnt(2)
	v_pk_fma_f16 v8, v28, v2, v8
	v_pk_fma_f16 v8, v43, v3, v8
	s_waitcnt lgkmcnt(1)
	v_pk_fma_f16 v8, v30, v4, v8
	v_or_b32_e32 v9, 0x64006400, v9
	v_pk_fma_f16 v8, v29, v5, v8
	v_pk_fma_f16 v86, v9, s36, v10 op_sel_hi:[1,0,0]
	s_waitcnt lgkmcnt(0)
	v_pk_fma_f16 v10, v46, v6, v8
	ds_read2_b32 v[8:9], v90 offset0:8 offset1:9
	v_pk_fma_f16 v32, v31, v7, v10
	ds_read2_b32 v[10:11], v90 offset0:10 offset1:11
	ds_read2_b32 v[28:29], v90 offset0:12 offset1:13
	ds_read2_b32 v[30:31], v90 offset0:14 offset1:15
	s_waitcnt lgkmcnt(3)
	v_pk_fma_f16 v32, v69, v8, v32
	v_pk_fma_f16 v32, v44, v9, v32
	s_waitcnt lgkmcnt(2)
	v_pk_fma_f16 v32, v33, v10, v32
	v_pk_fma_f16 v33, v50, v0, 0
	;; [unrolled: 1-line block ×14, first 2 shown]
	s_waitcnt lgkmcnt(1)
	v_pk_fma_f16 v32, v45, v28, v32
	v_pk_fma_f16 v33, v48, v28, v33
	;; [unrolled: 1-line block ×4, first 2 shown]
	s_waitcnt lgkmcnt(0)
	v_pk_fma_f16 v32, v70, v30, v32
	v_pk_fma_f16 v33, v61, v30, v33
	;; [unrolled: 1-line block ×4, first 2 shown]
	v_pack_b32_f16 v34, v32, v33
	v_perm_b32 v32, v33, v32, s38
	v_pk_add_f16 v32, v34, v32
	v_pk_fma_f16 v21, v32, v18, v21
	v_pk_fma_f16 v32, v37, v0, 0
	;; [unrolled: 1-line block ×33, first 2 shown]
	v_pack_b32_f16 v1, v32, v0
	v_perm_b32 v0, v0, v32, s38
	v_pk_add_f16 v0, v1, v0
	v_pk_fma_f16 v13, v0, v19, v13
	v_mov_b32_e32 v0, s30
	v_addc_co_u32_e64 v17, s[8:9], v17, v0, s[8:9]
	s_cbranch_scc0 .LBB16_42
.LBB16_25:                              ; =>This Inner Loop Header: Depth=1
	s_cmp_lg_u32 s26, s29
	s_cbranch_scc1 .LBB16_24
; %bb.26:                               ;   in Loop: Header=BB16_25 Depth=1
	s_add_i32 s28, s28, 1
	s_mul_i32 s39, s28, s20
	s_ashr_i32 s8, s39, 31
	s_lshr_b32 s8, s8, 27
	s_add_i32 s8, s39, s8
	s_ashr_i32 s8, s8, 5
	v_mad_u64_u32 v[0:1], s[8:9], s8, 3, v[14:15]
	v_ashrrev_i32_e32 v1, 31, v0
	v_lshlrev_b64 v[0:1], 2, v[0:1]
	v_mov_b32_e32 v2, s15
	v_add_co_u32_e64 v0, s[8:9], s14, v0
	v_addc_co_u32_e64 v1, s[8:9], v2, v1, s[8:9]
	global_load_dword v3, v[0:1], off
                                        ; implicit-def: $vgpr2
	s_and_saveexec_b64 s[8:9], vcc
	s_xor_b64 s[8:9], exec, s[8:9]
	s_cbranch_execz .LBB16_40
; %bb.27:                               ;   in Loop: Header=BB16_25 Depth=1
                                        ; implicit-def: $vgpr2
	s_and_saveexec_b64 s[12:13], s[0:1]
	s_xor_b64 s[12:13], exec, s[12:13]
	s_cbranch_execz .LBB16_37
; %bb.28:                               ;   in Loop: Header=BB16_25 Depth=1
                                        ; implicit-def: $vgpr2
	s_and_saveexec_b64 s[22:23], s[2:3]
	s_xor_b64 s[22:23], exec, s[22:23]
	s_cbranch_execz .LBB16_34
; %bb.29:                               ;   in Loop: Header=BB16_25 Depth=1
                                        ; implicit-def: $vgpr2
	s_and_saveexec_b64 s[24:25], s[4:5]
	s_xor_b64 s[24:25], exec, s[24:25]
	s_cbranch_execz .LBB16_31
; %bb.30:                               ;   in Loop: Header=BB16_25 Depth=1
	s_waitcnt vmcnt(0)
	v_lshrrev_b32_e32 v2, v22, v3
                                        ; implicit-def: $vgpr0_vgpr1
                                        ; implicit-def: $vgpr3
.LBB16_31:                              ;   in Loop: Header=BB16_25 Depth=1
	s_andn2_saveexec_b64 s[24:25], s[24:25]
	s_cbranch_execz .LBB16_33
; %bb.32:                               ;   in Loop: Header=BB16_25 Depth=1
	global_load_dword v0, v[0:1], off offset:4
	s_waitcnt vmcnt(0)
	v_alignbit_b32 v0, v0, v3, 28
	v_and_b32_e32 v2, 0xfff, v0
.LBB16_33:                              ;   in Loop: Header=BB16_25 Depth=1
	s_or_b64 exec, exec, s[24:25]
                                        ; implicit-def: $vgpr3
.LBB16_34:                              ;   in Loop: Header=BB16_25 Depth=1
	s_andn2_saveexec_b64 s[22:23], s[22:23]
	s_cbranch_execz .LBB16_36
; %bb.35:                               ;   in Loop: Header=BB16_25 Depth=1
	s_waitcnt vmcnt(0)
	v_lshrrev_b32_e32 v2, v23, v3
.LBB16_36:                              ;   in Loop: Header=BB16_25 Depth=1
	s_or_b64 exec, exec, s[22:23]
                                        ; implicit-def: $vgpr0_vgpr1
                                        ; implicit-def: $vgpr3
.LBB16_37:                              ;   in Loop: Header=BB16_25 Depth=1
	s_andn2_saveexec_b64 s[12:13], s[12:13]
	s_cbranch_execz .LBB16_39
; %bb.38:                               ;   in Loop: Header=BB16_25 Depth=1
	global_load_dword v0, v[0:1], off offset:4
	s_waitcnt vmcnt(0)
	v_perm_b32 v0, v3, v0, s33
	v_and_b32_e32 v2, 0xfff, v0
.LBB16_39:                              ;   in Loop: Header=BB16_25 Depth=1
	s_or_b64 exec, exec, s[12:13]
                                        ; implicit-def: $vgpr3
.LBB16_40:                              ;   in Loop: Header=BB16_25 Depth=1
	s_andn2_saveexec_b64 s[8:9], s[8:9]
	s_cbranch_execz .LBB16_23
; %bb.41:                               ;   in Loop: Header=BB16_25 Depth=1
	s_waitcnt vmcnt(0)
	v_lshrrev_b32_e32 v2, v15, v3
	s_branch .LBB16_23
.LBB16_42:
	s_mul_i32 s7, s7, s20
	v_add_u32_e32 v0, s7, v12
	v_ashrrev_i32_e32 v1, 31, v0
	v_lshlrev_b64 v[0:1], 1, v[0:1]
	v_mov_b32_e32 v2, s19
	v_add_co_u32_e32 v0, vcc, s18, v0
	v_addc_co_u32_e32 v1, vcc, v2, v1, vcc
	global_load_dword v3, v[0:1], off
	s_mov_b64 s[0:1], 0
.LBB16_43:                              ; =>This Inner Loop Header: Depth=1
	s_waitcnt vmcnt(0)
	v_pk_add_f16 v2, v21, v3
	global_atomic_cmpswap v2, v[0:1], v[2:3], off glc
	s_waitcnt vmcnt(0)
	v_cmp_eq_u32_e32 vcc, v3, v2
	s_or_b64 s[0:1], vcc, s[0:1]
	v_mov_b32_e32 v3, v2
	s_andn2_b64 exec, exec, s[0:1]
	s_cbranch_execnz .LBB16_43
; %bb.44:
	s_or_b64 exec, exec, s[0:1]
	global_load_dword v3, v[0:1], off offset:4
	s_mov_b64 s[0:1], 0
.LBB16_45:                              ; =>This Inner Loop Header: Depth=1
	s_waitcnt vmcnt(0)
	v_pk_add_f16 v2, v13, v3
	global_atomic_cmpswap v2, v[0:1], v[2:3], off offset:4 glc
	s_waitcnt vmcnt(0)
	v_cmp_eq_u32_e32 vcc, v3, v2
	s_or_b64 s[0:1], vcc, s[0:1]
	v_mov_b32_e32 v3, v2
	s_andn2_b64 exec, exec, s[0:1]
	s_cbranch_execnz .LBB16_45
.LBB16_46:
	s_endpgm
	.section	.rodata,"a",@progbits
	.p2align	6, 0x0
	.amdhsa_kernel _ZN4vllm4gptq33gemm_half_q_half_gptq_3bit_kernelILb1ELi1EEEvPK6__halfPKjS6_S4_PS2_iiiibPKi
		.amdhsa_group_segment_fixed_size 256
		.amdhsa_private_segment_fixed_size 0
		.amdhsa_kernarg_size 72
		.amdhsa_user_sgpr_count 6
		.amdhsa_user_sgpr_private_segment_buffer 1
		.amdhsa_user_sgpr_dispatch_ptr 0
		.amdhsa_user_sgpr_queue_ptr 0
		.amdhsa_user_sgpr_kernarg_segment_ptr 1
		.amdhsa_user_sgpr_dispatch_id 0
		.amdhsa_user_sgpr_flat_scratch_init 0
		.amdhsa_user_sgpr_kernarg_preload_length 0
		.amdhsa_user_sgpr_kernarg_preload_offset 0
		.amdhsa_user_sgpr_private_segment_size 0
		.amdhsa_uses_dynamic_stack 0
		.amdhsa_system_sgpr_private_segment_wavefront_offset 0
		.amdhsa_system_sgpr_workgroup_id_x 1
		.amdhsa_system_sgpr_workgroup_id_y 1
		.amdhsa_system_sgpr_workgroup_id_z 1
		.amdhsa_system_sgpr_workgroup_info 0
		.amdhsa_system_vgpr_workitem_id 0
		.amdhsa_next_free_vgpr 92
		.amdhsa_next_free_sgpr 40
		.amdhsa_accum_offset 92
		.amdhsa_reserve_vcc 1
		.amdhsa_reserve_flat_scratch 0
		.amdhsa_float_round_mode_32 0
		.amdhsa_float_round_mode_16_64 0
		.amdhsa_float_denorm_mode_32 3
		.amdhsa_float_denorm_mode_16_64 3
		.amdhsa_dx10_clamp 1
		.amdhsa_ieee_mode 1
		.amdhsa_fp16_overflow 0
		.amdhsa_tg_split 0
		.amdhsa_exception_fp_ieee_invalid_op 0
		.amdhsa_exception_fp_denorm_src 0
		.amdhsa_exception_fp_ieee_div_zero 0
		.amdhsa_exception_fp_ieee_overflow 0
		.amdhsa_exception_fp_ieee_underflow 0
		.amdhsa_exception_fp_ieee_inexact 0
		.amdhsa_exception_int_div_zero 0
	.end_amdhsa_kernel
	.section	.text._ZN4vllm4gptq33gemm_half_q_half_gptq_3bit_kernelILb1ELi1EEEvPK6__halfPKjS6_S4_PS2_iiiibPKi,"axG",@progbits,_ZN4vllm4gptq33gemm_half_q_half_gptq_3bit_kernelILb1ELi1EEEvPK6__halfPKjS6_S4_PS2_iiiibPKi,comdat
.Lfunc_end16:
	.size	_ZN4vllm4gptq33gemm_half_q_half_gptq_3bit_kernelILb1ELi1EEEvPK6__halfPKjS6_S4_PS2_iiiibPKi, .Lfunc_end16-_ZN4vllm4gptq33gemm_half_q_half_gptq_3bit_kernelILb1ELi1EEEvPK6__halfPKjS6_S4_PS2_iiiibPKi
                                        ; -- End function
	.section	.AMDGPU.csdata,"",@progbits
; Kernel info:
; codeLenInByte = 4456
; NumSgprs: 44
; NumVgprs: 92
; NumAgprs: 0
; TotalNumVgprs: 92
; ScratchSize: 0
; MemoryBound: 0
; FloatMode: 240
; IeeeMode: 1
; LDSByteSize: 256 bytes/workgroup (compile time only)
; SGPRBlocks: 5
; VGPRBlocks: 11
; NumSGPRsForWavesPerEU: 44
; NumVGPRsForWavesPerEU: 92
; AccumOffset: 92
; Occupancy: 5
; WaveLimiterHint : 0
; COMPUTE_PGM_RSRC2:SCRATCH_EN: 0
; COMPUTE_PGM_RSRC2:USER_SGPR: 6
; COMPUTE_PGM_RSRC2:TRAP_HANDLER: 0
; COMPUTE_PGM_RSRC2:TGID_X_EN: 1
; COMPUTE_PGM_RSRC2:TGID_Y_EN: 1
; COMPUTE_PGM_RSRC2:TGID_Z_EN: 1
; COMPUTE_PGM_RSRC2:TIDIG_COMP_CNT: 0
; COMPUTE_PGM_RSRC3_GFX90A:ACCUM_OFFSET: 22
; COMPUTE_PGM_RSRC3_GFX90A:TG_SPLIT: 0
	.section	.text._ZN4vllm4gptq33gemm_half_q_half_gptq_4bit_kernelILb1ELi1EEEvPK6__halfPKjS6_S4_PS2_iiiibPKi,"axG",@progbits,_ZN4vllm4gptq33gemm_half_q_half_gptq_4bit_kernelILb1ELi1EEEvPK6__halfPKjS6_S4_PS2_iiiibPKi,comdat
	.protected	_ZN4vllm4gptq33gemm_half_q_half_gptq_4bit_kernelILb1ELi1EEEvPK6__halfPKjS6_S4_PS2_iiiibPKi ; -- Begin function _ZN4vllm4gptq33gemm_half_q_half_gptq_4bit_kernelILb1ELi1EEEvPK6__halfPKjS6_S4_PS2_iiiibPKi
	.globl	_ZN4vllm4gptq33gemm_half_q_half_gptq_4bit_kernelILb1ELi1EEEvPK6__halfPKjS6_S4_PS2_iiiibPKi
	.p2align	8
	.type	_ZN4vllm4gptq33gemm_half_q_half_gptq_4bit_kernelILb1ELi1EEEvPK6__halfPKjS6_S4_PS2_iiiibPKi,@function
_ZN4vllm4gptq33gemm_half_q_half_gptq_4bit_kernelILb1ELi1EEEvPK6__halfPKjS6_S4_PS2_iiiibPKi: ; @_ZN4vllm4gptq33gemm_half_q_half_gptq_4bit_kernelILb1ELi1EEEvPK6__halfPKjS6_S4_PS2_iiiibPKi
; %bb.0:
	s_load_dwordx4 s[0:3], s[4:5], 0x2c
	s_load_dwordx8 s[12:19], s[4:5], 0x8
	s_lshl_b32 s22, s8, 7
	s_add_i32 s8, s22, 0x80
	v_cvt_f64_u32_e32 v[2:3], s8
	s_waitcnt lgkmcnt(0)
	v_cvt_f64_i32_e32 v[4:5], s1
	v_min_f64 v[2:3], v[2:3], v[4:5]
	v_cvt_i32_f64_e32 v1, v[2:3]
	v_add_u32_e32 v2, s22, v0
	v_readfirstlane_b32 s23, v1
	v_cmp_lt_u32_e32 vcc, v2, v1
	s_and_saveexec_b64 s[8:9], vcc
	s_cbranch_execz .LBB17_4
; %bb.1:
	s_load_dwordx2 s[20:21], s[4:5], 0x40
	s_load_dwordx2 s[10:11], s[4:5], 0x0
	v_mov_b32_e32 v3, 0
	s_waitcnt lgkmcnt(0)
	s_cmp_eq_u64 s[20:21], 0
	s_cbranch_scc1 .LBB17_3
; %bb.2:
	v_lshlrev_b64 v[2:3], 2, v[2:3]
	v_mov_b32_e32 v1, s21
	v_add_co_u32_e32 v2, vcc, s20, v2
	v_addc_co_u32_e32 v3, vcc, v1, v3, vcc
	global_load_dword v2, v[2:3], off
	s_waitcnt vmcnt(0)
	v_ashrrev_i32_e32 v3, 31, v2
.LBB17_3:
	s_mul_i32 s4, s7, s1
	s_ashr_i32 s5, s4, 31
	s_lshl_b64 s[4:5], s[4:5], 1
	s_add_u32 s4, s10, s4
	s_addc_u32 s5, s11, s5
	v_lshlrev_b64 v[2:3], 1, v[2:3]
	v_mov_b32_e32 v1, s5
	v_add_co_u32_e32 v2, vcc, s4, v2
	v_addc_co_u32_e32 v3, vcc, v1, v3, vcc
	global_load_ushort v1, v[2:3], off
	v_lshlrev_b32_e32 v2, 1, v0
	s_waitcnt vmcnt(0)
	ds_write_b16 v2, v1
.LBB17_4:
	s_or_b64 exec, exec, s[8:9]
	v_lshlrev_b32_e32 v1, 2, v0
	v_lshl_add_u32 v16, s6, 9, v1
	v_cmp_gt_i32_e32 vcc, s0, v16
	s_and_saveexec_b64 s[4:5], vcc
	s_cbranch_execz .LBB17_15
; %bb.5:
	s_abs_i32 s4, s2
	v_cvt_f32_u32_e32 v1, s4
	s_mov_b32 s6, 0
	v_mov_b32_e32 v5, 0
	s_cmp_ge_i32 s22, s23
	v_rcp_iflag_f32_e32 v1, v1
	v_mov_b32_e32 v4, 0
	s_waitcnt lgkmcnt(0)
	s_barrier
	v_mul_f32_e32 v1, 0x4f7ffffe, v1
	v_cvt_u32_f32_e32 v1, v1
	v_readfirstlane_b32 s5, v1
	s_cbranch_scc1 .LBB17_11
; %bb.6:
	s_sub_i32 s9, 0, s4
	s_mul_i32 s9, s9, s5
	s_mul_hi_u32 s9, s5, s9
	s_ashr_i32 s8, s1, 31
	s_abs_i32 s1, s1
	s_add_i32 s5, s5, s9
	s_ashr_i32 s2, s2, 31
	s_mul_hi_u32 s5, s1, s5
	s_xor_b32 s2, s8, s2
	s_mul_i32 s8, s5, s4
	s_sub_i32 s1, s1, s8
	s_add_i32 s8, s5, 1
	s_sub_i32 s9, s1, s4
	s_cmp_ge_u32 s1, s4
	s_cselect_b32 s5, s8, s5
	s_cselect_b32 s1, s9, s1
	s_add_i32 s8, s5, 1
	s_cmp_ge_u32 s1, s4
	s_cselect_b32 s1, s8, s5
	s_xor_b32 s1, s1, s2
	s_sub_i32 s8, s1, s2
	v_cvt_f32_u32_e32 v1, s8
	s_bitcmp1_b32 s3, 0
	s_cselect_b64 s[2:3], -1, 0
	s_sub_i32 s1, 0, s8
	v_rcp_iflag_f32_e32 v1, v1
	s_xor_b64 s[2:3], s[2:3], -1
	v_ashrrev_i32_e32 v17, 31, v16
	v_lshrrev_b32_e32 v2, 29, v17
	v_mul_f32_e32 v1, 0x4f7ffffe, v1
	v_cvt_u32_f32_e32 v1, v1
	v_add_u32_e32 v2, v16, v2
	v_ashrrev_i32_e32 v36, 3, v2
	v_mov_b32_e32 v6, s17
	v_readfirstlane_b32 s4, v1
	s_mul_i32 s1, s1, s4
	s_mul_hi_u32 s1, s4, s1
	s_add_i32 s4, s4, s1
	s_mul_hi_u32 s1, s22, s4
	s_mul_i32 s4, s1, s8
	s_sub_i32 s4, s22, s4
	s_add_i32 s5, s1, 1
	s_sub_i32 s9, s4, s8
	s_cmp_ge_u32 s4, s8
	s_cselect_b32 s1, s5, s1
	s_cselect_b32 s4, s9, s4
	s_add_i32 s5, s1, 1
	s_cmp_ge_u32 s4, s8
	s_cselect_b32 s9, s5, s1
	s_mul_i32 s1, s9, s0
	s_ashr_i32 s4, s1, 31
	s_lshr_b32 s4, s4, 29
	s_add_i32 s4, s1, s4
	v_add_u32_e32 v4, s1, v16
	s_ashr_i32 s4, s4, 3
	v_ashrrev_i32_e32 v5, 31, v4
	v_add_u32_e32 v2, s4, v36
	v_lshlrev_b64 v[4:5], 1, v[4:5]
	v_ashrrev_i32_e32 v3, 31, v2
	v_add_co_u32_e32 v4, vcc, s16, v4
	v_lshlrev_b64 v[2:3], 2, v[2:3]
	v_addc_co_u32_e32 v5, vcc, v6, v5, vcc
	v_mov_b32_e32 v1, s15
	v_add_co_u32_e32 v2, vcc, s14, v2
	v_addc_co_u32_e32 v3, vcc, v1, v3, vcc
	global_load_dword v2, v[2:3], off
	s_lshr_b32 s1, s22, 3
	global_load_dwordx2 v[4:5], v[4:5], off
	v_lshlrev_b32_e32 v3, 4, v0
	v_lshlrev_b64 v[0:1], 2, v[16:17]
	v_cndmask_b32_e64 v17, 0, 1, s[2:3]
	s_mul_i32 s2, s1, s0
	s_ashr_i32 s3, s2, 31
	s_lshl_b64 s[2:3], s[2:3], 2
	s_add_u32 s20, s12, s2
	s_addc_u32 s2, s13, s3
	v_and_b32_e32 v37, 16, v3
	v_mov_b32_e32 v6, s2
	v_add_co_u32_e32 v20, vcc, s20, v0
	v_addc_co_u32_e32 v21, vcc, v6, v1, vcc
	s_mov_b32 s10, 0x5040100
	v_mov_b32_e32 v18, 0
	s_ashr_i32 s1, s0, 31
	s_movk_i32 s11, 0x2c00
	v_mov_b32_e32 v19, v18
	v_mov_b32_e32 v22, v18
	s_add_i32 s12, s8, s22
	s_lshl_b64 s[2:3], s[0:1], 4
	s_lshl_b64 s[4:5], s[0:1], 2
	v_mov_b32_e32 v23, v18
	s_waitcnt vmcnt(1)
	v_lshrrev_b32_e32 v0, v3, v2
	v_bfe_u32 v1, v2, v37, 4
	v_bfe_u32 v2, v0, 12, 4
	;; [unrolled: 1-line block ×4, first 2 shown]
	v_add_u32_e32 v1, v1, v17
	v_add_u32_e32 v2, v2, v17
	;; [unrolled: 1-line block ×4, first 2 shown]
	s_waitcnt vmcnt(0)
	v_cvt_f32_f16_e32 v24, v4
	v_cvt_f32_f16_sdwa v25, v4 dst_sel:DWORD dst_unused:UNUSED_PAD src0_sel:WORD_1
	v_cvt_f32_f16_e32 v26, v5
	v_cvt_f32_f16_sdwa v27, v5 dst_sel:DWORD dst_unused:UNUSED_PAD src0_sel:WORD_1
	v_cvt_f32_ubyte0_e32 v4, v1
	v_or_b32_e32 v1, 0xffffe400, v1
	v_cvt_f32_ubyte0_e32 v5, v2
	v_or_b32_e32 v2, 0xffffe400, v2
	;; [unrolled: 2-line block ×3, first 2 shown]
	v_cvt_f32_ubyte0_e32 v7, v0
	v_cvt_f16_f32_e32 v4, v4
	v_perm_b32 v38, v1, v1, s10
	v_cvt_f16_f32_e32 v1, v5
	v_perm_b32 v41, v2, v2, s10
	;; [unrolled: 2-line block ×3, first 2 shown]
	v_cvt_f16_f32_e32 v3, v7
	v_or_b32_e32 v0, 0xffffe400, v0
	v_perm_b32 v39, v0, v0, s10
	v_sub_f16_e32 v0, 0xd400, v4
	v_sub_f16_e32 v1, 0xd400, v1
	;; [unrolled: 1-line block ×4, first 2 shown]
	v_pack_b32_f16 v42, v0, v0
	v_pack_b32_f16 v45, v1, v1
	;; [unrolled: 1-line block ×4, first 2 shown]
	s_branch .LBB17_8
.LBB17_7:                               ;   in Loop: Header=BB17_8 Depth=1
	global_load_dwordx4 v[12:15], v[20:21], off
	v_mov_b32_e32 v2, s5
	v_add_co_u32_e32 v0, vcc, s4, v20
	v_addc_co_u32_e32 v1, vcc, v21, v2, vcc
	global_load_dwordx4 v[4:7], v[0:1], off
	v_add_co_u32_e32 v0, vcc, s4, v0
	v_mov_b32_e32 v46, s6
	v_addc_co_u32_e32 v1, vcc, v1, v2, vcc
	ds_read2_b32 v[34:35], v46 offset1:1
	ds_read2_b32 v[32:33], v46 offset0:2 offset1:3
	ds_read2_b32 v[28:29], v46 offset0:4 offset1:5
	;; [unrolled: 1-line block ×3, first 2 shown]
	global_load_dwordx4 v[8:11], v[0:1], off
	v_add_co_u32_e32 v0, vcc, s4, v0
	v_addc_co_u32_e32 v1, vcc, v1, v2, vcc
	global_load_dwordx4 v[0:3], v[0:1], off
	s_add_i32 s22, s22, 32
	s_add_i32 s6, s6, 64
	v_add_co_u32_e32 v20, vcc, s2, v20
	s_cmp_lt_i32 s22, s23
	s_waitcnt vmcnt(3)
	v_and_b32_e32 v47, 0xf000f, v12
	v_and_b32_e32 v49, 0xf000f, v13
	;; [unrolled: 1-line block ×4, first 2 shown]
	v_lshrrev_b32_e32 v14, 8, v14
	v_and_b32_e32 v50, 0xf000f0, v13
	v_lshrrev_b32_e32 v13, 8, v13
	v_and_b32_e32 v53, 0xf000f, v15
	v_or_b32_e32 v47, 0x64006400, v47
	v_or_b32_e32 v49, 0x64006400, v49
	v_and_b32_e32 v57, 0xf000f, v14
	v_and_b32_e32 v14, 0xf000f0, v14
	v_or_b32_e32 v50, 0x64006400, v50
	v_and_b32_e32 v56, 0xf000f, v13
	v_or_b32_e32 v51, 0x64006400, v51
	v_or_b32_e32 v53, 0x64006400, v53
	v_pk_add_f16 v47, v38, v47
	v_pk_add_f16 v49, v39, v49
	v_or_b32_e32 v14, 0x64006400, v14
	v_and_b32_e32 v54, 0xf000f0, v15
	v_lshrrev_b32_e32 v15, 8, v15
	v_and_b32_e32 v13, 0xf000f0, v13
	v_or_b32_e32 v56, 0x64006400, v56
	v_pk_fma_f16 v50, v50, s11, v43 op_sel_hi:[1,0,1]
	v_pk_add_f16 v51, v40, v51
	v_pk_add_f16 v53, v41, v53
	v_pk_fma_f16 v59, v14, s11, v44 op_sel_hi:[1,0,1]
	s_waitcnt lgkmcnt(3)
	v_pk_fma_f16 v14, v47, v34, 0
	v_pk_fma_f16 v47, v49, v34, 0
	v_or_b32_e32 v54, 0x64006400, v54
	v_and_b32_e32 v58, 0xf000f, v15
	v_or_b32_e32 v13, 0x64006400, v13
	v_pk_add_f16 v56, v39, v56
	v_pk_fma_f16 v49, v51, v34, 0
	v_pk_fma_f16 v51, v53, v34, 0
	;; [unrolled: 1-line block ×3, first 2 shown]
	v_and_b32_e32 v48, 0xf000f0, v12
	v_lshrrev_b32_e32 v12, 8, v12
	v_and_b32_e32 v15, 0xf000f0, v15
	v_or_b32_e32 v58, 0x64006400, v58
	v_pk_fma_f16 v54, v54, s11, v45 op_sel_hi:[1,0,1]
	v_pk_fma_f16 v13, v13, s11, v43 op_sel_hi:[1,0,1]
	s_waitcnt lgkmcnt(2)
	v_pk_fma_f16 v34, v56, v32, v34
	v_or_b32_e32 v48, 0x64006400, v48
	v_and_b32_e32 v55, 0xf000f, v12
	v_or_b32_e32 v52, 0x64006400, v52
	v_or_b32_e32 v15, 0x64006400, v15
	v_pk_add_f16 v58, v41, v58
	v_pk_fma_f16 v34, v13, v33, v34
	v_pk_fma_f16 v13, v54, v35, v51
	v_and_b32_e32 v12, 0xf000f0, v12
	v_or_b32_e32 v55, 0x64006400, v55
	v_pk_fma_f16 v48, v48, s11, v42 op_sel_hi:[1,0,1]
	v_or_b32_e32 v57, 0x64006400, v57
	v_pk_fma_f16 v52, v52, s11, v44 op_sel_hi:[1,0,1]
	v_pk_fma_f16 v15, v15, s11, v45 op_sel_hi:[1,0,1]
	v_pk_fma_f16 v13, v58, v32, v13
	v_or_b32_e32 v12, 0x64006400, v12
	v_pk_add_f16 v55, v38, v55
	v_pk_add_f16 v57, v40, v57
	v_pk_fma_f16 v14, v48, v35, v14
	v_pk_fma_f16 v47, v52, v35, v49
	;; [unrolled: 1-line block ×3, first 2 shown]
	s_waitcnt vmcnt(2)
	v_and_b32_e32 v15, 0xf000f, v4
	v_pk_fma_f16 v12, v12, s11, v42 op_sel_hi:[1,0,1]
	v_pk_fma_f16 v14, v55, v32, v14
	v_pk_fma_f16 v47, v57, v32, v47
	v_or_b32_e32 v15, 0x64006400, v15
	v_and_b32_e32 v32, 0xf000f0, v4
	v_lshrrev_b32_e32 v4, 8, v4
	v_pk_fma_f16 v14, v12, v33, v14
	v_pk_fma_f16 v12, v59, v33, v47
	v_or_b32_e32 v32, 0x64006400, v32
	v_and_b32_e32 v33, 0xf000f, v4
	v_pk_add_f16 v15, v38, v15
	v_or_b32_e32 v33, 0x64006400, v33
	v_and_b32_e32 v4, 0xf000f0, v4
	v_pk_fma_f16 v32, v32, s11, v42 op_sel_hi:[1,0,1]
	v_and_b32_e32 v35, 0xf000f, v5
	s_waitcnt lgkmcnt(1)
	v_pk_fma_f16 v15, v15, v28, 0
	v_or_b32_e32 v4, 0x64006400, v4
	v_pk_add_f16 v33, v38, v33
	v_or_b32_e32 v35, 0x64006400, v35
	v_and_b32_e32 v47, 0xf000f0, v5
	v_lshrrev_b32_e32 v5, 8, v5
	v_pk_fma_f16 v15, v32, v29, v15
	v_pk_fma_f16 v4, v4, s11, v42 op_sel_hi:[1,0,1]
	v_or_b32_e32 v47, 0x64006400, v47
	v_and_b32_e32 v48, 0xf000f, v5
	v_pk_add_f16 v35, v39, v35
	s_waitcnt lgkmcnt(0)
	v_pk_fma_f16 v15, v33, v30, v15
	v_or_b32_e32 v48, 0x64006400, v48
	v_and_b32_e32 v5, 0xf000f0, v5
	v_pk_fma_f16 v47, v47, s11, v43 op_sel_hi:[1,0,1]
	v_and_b32_e32 v49, 0xf000f, v6
	v_pk_fma_f16 v32, v4, v31, v15
	v_pk_fma_f16 v4, v35, v28, 0
	v_or_b32_e32 v5, 0x64006400, v5
	v_pk_add_f16 v48, v39, v48
	v_or_b32_e32 v49, 0x64006400, v49
	v_and_b32_e32 v50, 0xf000f0, v6
	v_lshrrev_b32_e32 v6, 8, v6
	v_pk_fma_f16 v4, v47, v29, v4
	v_pk_fma_f16 v5, v5, s11, v43 op_sel_hi:[1,0,1]
	v_or_b32_e32 v50, 0x64006400, v50
	v_and_b32_e32 v51, 0xf000f, v6
	v_pk_add_f16 v49, v40, v49
	v_pk_fma_f16 v4, v48, v30, v4
	v_or_b32_e32 v51, 0x64006400, v51
	v_and_b32_e32 v6, 0xf000f0, v6
	v_pk_fma_f16 v50, v50, s11, v44 op_sel_hi:[1,0,1]
	v_and_b32_e32 v52, 0xf000f, v7
	v_pk_fma_f16 v33, v5, v31, v4
	v_pk_fma_f16 v4, v49, v28, 0
	v_or_b32_e32 v6, 0x64006400, v6
	v_pk_add_f16 v51, v40, v51
	v_or_b32_e32 v52, 0x64006400, v52
	v_and_b32_e32 v53, 0xf000f0, v7
	v_lshrrev_b32_e32 v7, 8, v7
	v_pk_fma_f16 v4, v50, v29, v4
	v_pk_fma_f16 v6, v6, s11, v44 op_sel_hi:[1,0,1]
	v_or_b32_e32 v53, 0x64006400, v53
	v_and_b32_e32 v54, 0xf000f, v7
	v_pk_add_f16 v52, v41, v52
	v_pk_fma_f16 v4, v51, v30, v4
	v_or_b32_e32 v54, 0x64006400, v54
	v_and_b32_e32 v7, 0xf000f0, v7
	v_pk_fma_f16 v53, v53, s11, v45 op_sel_hi:[1,0,1]
	v_pk_fma_f16 v15, v6, v31, v4
	v_pk_fma_f16 v4, v52, v28, 0
	v_or_b32_e32 v7, 0x64006400, v7
	v_pk_add_f16 v54, v41, v54
	v_pk_fma_f16 v4, v53, v29, v4
	v_pk_fma_f16 v7, v7, s11, v45 op_sel_hi:[1,0,1]
	v_pk_fma_f16 v4, v54, v30, v4
	s_waitcnt vmcnt(1)
	v_lshrrev_b32_e32 v6, 8, v8
	v_pk_fma_f16 v28, v7, v31, v4
	v_and_b32_e32 v7, 0xf000f, v6
	v_and_b32_e32 v6, 0xf000f0, v6
	v_or_b32_e32 v6, 0x64006400, v6
	v_or_b32_e32 v7, 0x64006400, v7
	v_pk_fma_f16 v35, v6, s11, v42 op_sel_hi:[1,0,1]
	v_lshrrev_b32_e32 v6, 8, v9
	v_and_b32_e32 v4, 0xf000f, v8
	v_and_b32_e32 v5, 0xf000f0, v8
	v_pk_add_f16 v31, v38, v7
	v_and_b32_e32 v7, 0xf000f, v6
	v_and_b32_e32 v6, 0xf000f0, v6
	v_or_b32_e32 v4, 0x64006400, v4
	v_or_b32_e32 v5, 0x64006400, v5
	;; [unrolled: 1-line block ×3, first 2 shown]
	v_pk_add_f16 v29, v38, v4
	v_pk_fma_f16 v30, v5, s11, v42 op_sel_hi:[1,0,1]
	v_and_b32_e32 v4, 0xf000f, v9
	v_and_b32_e32 v5, 0xf000f0, v9
	v_or_b32_e32 v7, 0x64006400, v7
	v_pk_fma_f16 v50, v6, s11, v43 op_sel_hi:[1,0,1]
	v_lshrrev_b32_e32 v6, 8, v10
	v_or_b32_e32 v4, 0x64006400, v4
	v_or_b32_e32 v5, 0x64006400, v5
	v_pk_add_f16 v49, v39, v7
	v_and_b32_e32 v7, 0xf000f, v6
	v_and_b32_e32 v6, 0xf000f0, v6
	v_pk_add_f16 v47, v39, v4
	v_pk_fma_f16 v48, v5, s11, v43 op_sel_hi:[1,0,1]
	v_and_b32_e32 v4, 0xf000f, v10
	v_and_b32_e32 v5, 0xf000f0, v10
	v_or_b32_e32 v6, 0x64006400, v6
	ds_read2_b32 v[8:9], v46 offset0:8 offset1:9
	v_or_b32_e32 v4, 0x64006400, v4
	v_or_b32_e32 v5, 0x64006400, v5
	;; [unrolled: 1-line block ×3, first 2 shown]
	v_pk_fma_f16 v54, v6, s11, v44 op_sel_hi:[1,0,1]
	v_lshrrev_b32_e32 v6, 8, v11
	v_pk_add_f16 v51, v40, v4
	v_pk_fma_f16 v52, v5, s11, v44 op_sel_hi:[1,0,1]
	v_pk_add_f16 v53, v40, v7
	v_and_b32_e32 v4, 0xf000f, v11
	v_and_b32_e32 v5, 0xf000f0, v11
	;; [unrolled: 1-line block ×4, first 2 shown]
	v_or_b32_e32 v4, 0x64006400, v4
	v_or_b32_e32 v5, 0x64006400, v5
	;; [unrolled: 1-line block ×4, first 2 shown]
	v_pk_add_f16 v55, v41, v4
	v_pk_fma_f16 v56, v5, s11, v45 op_sel_hi:[1,0,1]
	v_pk_add_f16 v57, v41, v7
	v_pk_fma_f16 v58, v6, s11, v45 op_sel_hi:[1,0,1]
	ds_read2_b32 v[10:11], v46 offset0:10 offset1:11
	ds_read2_b32 v[6:7], v46 offset0:12 offset1:13
	;; [unrolled: 1-line block ×3, first 2 shown]
	s_waitcnt lgkmcnt(3)
	v_pk_fma_f16 v29, v29, v8, 0
	v_pk_fma_f16 v29, v30, v9, v29
	s_waitcnt lgkmcnt(2)
	v_pk_fma_f16 v29, v31, v10, v29
	v_pk_fma_f16 v30, v47, v8, 0
	;; [unrolled: 1-line block ×14, first 2 shown]
	s_waitcnt vmcnt(0)
	v_and_b32_e32 v11, 0xf000f, v1
	v_and_b32_e32 v31, 0xf000f0, v1
	v_lshrrev_b32_e32 v1, 8, v1
	v_and_b32_e32 v47, 0xf000f, v1
	v_and_b32_e32 v1, 0xf000f0, v1
	v_or_b32_e32 v1, 0x64006400, v1
	v_pk_fma_f16 v48, v1, s11, v43 op_sel_hi:[1,0,1]
	v_and_b32_e32 v1, 0xf000f, v2
	v_and_b32_e32 v8, 0xf000f, v0
	v_or_b32_e32 v1, 0x64006400, v1
	v_or_b32_e32 v8, 0x64006400, v8
	v_and_b32_e32 v9, 0xf000f0, v0
	v_lshrrev_b32_e32 v0, 8, v0
	v_pk_add_f16 v51, v40, v1
	v_and_b32_e32 v1, 0xf000f, v3
	v_or_b32_e32 v9, 0x64006400, v9
	v_and_b32_e32 v10, 0xf000f, v0
	v_pk_add_f16 v8, v38, v8
	v_and_b32_e32 v49, 0xf000f0, v2
	v_lshrrev_b32_e32 v2, 8, v2
	v_or_b32_e32 v1, 0x64006400, v1
	v_or_b32_e32 v10, 0x64006400, v10
	v_and_b32_e32 v0, 0xf000f0, v0
	v_pk_fma_f16 v9, v9, s11, v42 op_sel_hi:[1,0,1]
	v_and_b32_e32 v50, 0xf000f, v2
	v_and_b32_e32 v2, 0xf000f0, v2
	v_pk_add_f16 v54, v41, v1
	s_waitcnt lgkmcnt(1)
	v_pk_fma_f16 v1, v8, v6, 0
	v_or_b32_e32 v0, 0x64006400, v0
	v_pk_add_f16 v10, v38, v10
	v_or_b32_e32 v11, 0x64006400, v11
	v_or_b32_e32 v2, 0x64006400, v2
	v_pk_fma_f16 v1, v9, v7, v1
	v_pk_fma_f16 v0, v0, s11, v42 op_sel_hi:[1,0,1]
	v_or_b32_e32 v31, 0x64006400, v31
	v_pk_add_f16 v11, v39, v11
	v_pk_fma_f16 v52, v2, s11, v44 op_sel_hi:[1,0,1]
	v_and_b32_e32 v2, 0xf000f0, v3
	v_lshrrev_b32_e32 v3, 8, v3
	s_waitcnt lgkmcnt(0)
	v_pk_fma_f16 v1, v10, v4, v1
	v_or_b32_e32 v47, 0x64006400, v47
	v_pk_fma_f16 v31, v31, s11, v43 op_sel_hi:[1,0,1]
	v_and_b32_e32 v53, 0xf000f, v3
	v_and_b32_e32 v3, 0xf000f0, v3
	v_pk_fma_f16 v57, v0, v5, v1
	v_pk_fma_f16 v0, v11, v6, 0
	v_pk_add_f16 v47, v39, v47
	v_or_b32_e32 v2, 0x64006400, v2
	v_or_b32_e32 v3, 0x64006400, v3
	v_pk_fma_f16 v0, v31, v7, v0
	v_pk_fma_f16 v55, v2, s11, v45 op_sel_hi:[1,0,1]
	v_pk_fma_f16 v56, v3, s11, v45 op_sel_hi:[1,0,1]
	v_pk_fma_f16 v31, v47, v4, v0
	v_cvt_f32_f16_e32 v1, v34
	v_cvt_f32_f16_e32 v0, v14
	v_cvt_f32_f16_sdwa v3, v34 dst_sel:DWORD dst_unused:UNUSED_PAD src0_sel:WORD_1
	v_cvt_f32_f16_sdwa v2, v14 dst_sel:DWORD dst_unused:UNUSED_PAD src0_sel:WORD_1
	v_cvt_f32_f16_e32 v9, v33
	v_cvt_f32_f16_e32 v8, v32
	v_cvt_f32_f16_sdwa v11, v33 dst_sel:DWORD dst_unused:UNUSED_PAD src0_sel:WORD_1
	v_cvt_f32_f16_sdwa v10, v32 dst_sel:DWORD dst_unused:UNUSED_PAD src0_sel:WORD_1
	v_pk_fma_f16 v14, v48, v5, v31
	v_pk_add_f32 v[0:1], v[0:1], v[2:3]
	v_pk_fma_f32 v[0:1], v[0:1], v[24:25], v[22:23]
	v_pk_add_f32 v[2:3], v[8:9], v[10:11]
	v_cvt_f32_f16_e32 v9, v30
	v_cvt_f32_f16_e32 v8, v29
	v_cvt_f32_f16_sdwa v11, v30 dst_sel:DWORD dst_unused:UNUSED_PAD src0_sel:WORD_1
	v_cvt_f32_f16_sdwa v10, v29 dst_sel:DWORD dst_unused:UNUSED_PAD src0_sel:WORD_1
	v_cvt_f32_f16_e32 v23, v14
	v_cvt_f32_f16_e32 v22, v57
	v_cvt_f32_f16_sdwa v31, v14 dst_sel:DWORD dst_unused:UNUSED_PAD src0_sel:WORD_1
	v_cvt_f32_f16_sdwa v30, v57 dst_sel:DWORD dst_unused:UNUSED_PAD src0_sel:WORD_1
	v_pk_fma_f32 v[0:1], v[2:3], v[24:25], v[0:1]
	v_pk_add_f32 v[2:3], v[8:9], v[10:11]
	v_or_b32_e32 v49, 0x64006400, v49
	v_pk_fma_f32 v[0:1], v[2:3], v[24:25], v[0:1]
	v_pk_add_f32 v[2:3], v[22:23], v[30:31]
	v_or_b32_e32 v50, 0x64006400, v50
	v_pk_fma_f16 v49, v49, s11, v44 op_sel_hi:[1,0,1]
	v_pk_fma_f32 v[22:23], v[2:3], v[24:25], v[0:1]
	v_pk_fma_f16 v0, v51, v6, 0
	v_pk_add_f16 v50, v40, v50
	v_pk_fma_f16 v0, v49, v7, v0
	v_pk_fma_f16 v0, v50, v4, v0
	v_or_b32_e32 v53, 0x64006400, v53
	v_pk_fma_f16 v10, v52, v5, v0
	v_pk_fma_f16 v0, v54, v6, 0
	v_pk_add_f16 v53, v41, v53
	v_pk_fma_f16 v0, v55, v7, v0
	v_pk_fma_f16 v4, v53, v4, v0
	v_cvt_f32_f16_e32 v1, v13
	v_cvt_f32_f16_e32 v0, v12
	v_cvt_f32_f16_sdwa v3, v13 dst_sel:DWORD dst_unused:UNUSED_PAD src0_sel:WORD_1
	v_cvt_f32_f16_sdwa v2, v12 dst_sel:DWORD dst_unused:UNUSED_PAD src0_sel:WORD_1
	v_cvt_f32_f16_e32 v7, v28
	v_cvt_f32_f16_e32 v6, v15
	v_cvt_f32_f16_sdwa v9, v28 dst_sel:DWORD dst_unused:UNUSED_PAD src0_sel:WORD_1
	v_cvt_f32_f16_sdwa v8, v15 dst_sel:DWORD dst_unused:UNUSED_PAD src0_sel:WORD_1
	v_pk_fma_f16 v11, v56, v5, v4
	v_pk_add_f32 v[0:1], v[0:1], v[2:3]
	v_cvt_f32_f16_e32 v5, v46
	v_pk_add_f32 v[2:3], v[6:7], v[8:9]
	v_cvt_f32_f16_e32 v4, v35
	v_cvt_f32_f16_sdwa v7, v46 dst_sel:DWORD dst_unused:UNUSED_PAD src0_sel:WORD_1
	v_cvt_f32_f16_sdwa v6, v35 dst_sel:DWORD dst_unused:UNUSED_PAD src0_sel:WORD_1
	v_cvt_f32_f16_e32 v9, v11
	v_cvt_f32_f16_e32 v8, v10
	v_cvt_f32_f16_sdwa v11, v11 dst_sel:DWORD dst_unused:UNUSED_PAD src0_sel:WORD_1
	v_cvt_f32_f16_sdwa v10, v10 dst_sel:DWORD dst_unused:UNUSED_PAD src0_sel:WORD_1
	v_pk_fma_f32 v[0:1], v[0:1], v[26:27], v[18:19]
	v_pk_fma_f32 v[0:1], v[2:3], v[26:27], v[0:1]
	v_pk_add_f32 v[2:3], v[4:5], v[6:7]
	v_pk_fma_f32 v[0:1], v[2:3], v[26:27], v[0:1]
	v_pk_add_f32 v[2:3], v[8:9], v[10:11]
	v_pk_fma_f32 v[18:19], v[2:3], v[26:27], v[0:1]
	v_mov_b32_e32 v0, s3
	v_addc_co_u32_e32 v21, vcc, v21, v0, vcc
	s_cbranch_scc0 .LBB17_10
.LBB17_8:                               ; =>This Inner Loop Header: Depth=1
	s_cmp_lg_u32 s22, s12
	s_cbranch_scc1 .LBB17_7
; %bb.9:                                ;   in Loop: Header=BB17_8 Depth=1
	s_add_i32 s9, s9, 1
	s_mul_i32 s1, s9, s0
	s_ashr_i32 s13, s1, 31
	s_lshr_b32 s13, s13, 29
	s_add_i32 s13, s1, s13
	v_add_u32_e32 v2, s1, v16
	s_ashr_i32 s13, s13, 3
	v_ashrrev_i32_e32 v3, 31, v2
	v_add_u32_e32 v0, s13, v36
	v_lshlrev_b64 v[2:3], 1, v[2:3]
	v_ashrrev_i32_e32 v1, 31, v0
	v_mov_b32_e32 v5, s17
	v_add_co_u32_e32 v2, vcc, s16, v2
	v_lshlrev_b64 v[0:1], 2, v[0:1]
	v_addc_co_u32_e32 v3, vcc, v5, v3, vcc
	v_mov_b32_e32 v4, s15
	v_add_co_u32_e32 v0, vcc, s14, v0
	v_addc_co_u32_e32 v1, vcc, v4, v1, vcc
	global_load_dword v0, v[0:1], off
	s_add_i32 s12, s12, s8
	global_load_dwordx2 v[2:3], v[2:3], off
	s_waitcnt vmcnt(1)
	v_lshrrev_b32_e32 v1, v37, v0
	v_bfe_u32 v0, v0, v37, 4
	s_waitcnt vmcnt(0)
	v_cvt_f32_f16_e32 v24, v2
	v_cvt_f32_f16_sdwa v25, v2 dst_sel:DWORD dst_unused:UNUSED_PAD src0_sel:WORD_1
	v_cvt_f32_f16_e32 v26, v3
	v_cvt_f32_f16_sdwa v27, v3 dst_sel:DWORD dst_unused:UNUSED_PAD src0_sel:WORD_1
	v_bfe_u32 v2, v1, 4, 4
	v_bfe_u32 v3, v1, 8, 4
	;; [unrolled: 1-line block ×3, first 2 shown]
	v_add_u32_e32 v0, v0, v17
	v_or_b32_e32 v4, 0xffffe400, v0
	v_cvt_f32_ubyte0_e32 v0, v0
	v_add_u32_e32 v2, v2, v17
	v_add_u32_e32 v3, v3, v17
	;; [unrolled: 1-line block ×3, first 2 shown]
	v_cvt_f16_f32_e32 v0, v0
	v_perm_b32 v38, v4, v4, s10
	v_or_b32_e32 v4, 0xffffe400, v2
	v_cvt_f32_ubyte0_e32 v2, v2
	v_or_b32_e32 v5, 0xffffe400, v3
	v_cvt_f32_ubyte0_e32 v3, v3
	;; [unrolled: 2-line block ×3, first 2 shown]
	v_cvt_f16_f32_e32 v2, v2
	v_cvt_f16_f32_e32 v3, v3
	;; [unrolled: 1-line block ×3, first 2 shown]
	v_sub_f16_e32 v0, 0xd400, v0
	v_pack_b32_f16 v42, v0, v0
	v_sub_f16_e32 v0, 0xd400, v2
	v_sub_f16_e32 v2, 0xd400, v3
	;; [unrolled: 1-line block ×3, first 2 shown]
	v_perm_b32 v39, v4, v4, s10
	v_perm_b32 v40, v5, v5, s10
	;; [unrolled: 1-line block ×3, first 2 shown]
	v_pack_b32_f16 v43, v0, v0
	v_pack_b32_f16 v44, v2, v2
	v_pack_b32_f16 v45, v1, v1
	s_branch .LBB17_7
.LBB17_10:
	v_cvt_f16_f32_e32 v0, v23
	v_cvt_f16_f32_e32 v1, v22
	;; [unrolled: 1-line block ×4, first 2 shown]
	v_pack_b32_f16 v5, v1, v0
	v_pack_b32_f16 v4, v3, v2
.LBB17_11:
	s_mul_i32 s7, s7, s0
	v_add_u32_e32 v0, s7, v16
	v_ashrrev_i32_e32 v1, 31, v0
	v_lshlrev_b64 v[0:1], 1, v[0:1]
	v_mov_b32_e32 v2, s19
	v_add_co_u32_e32 v0, vcc, s18, v0
	v_addc_co_u32_e32 v1, vcc, v2, v1, vcc
	global_load_dword v3, v[0:1], off
	s_mov_b64 s[0:1], 0
.LBB17_12:                              ; =>This Inner Loop Header: Depth=1
	s_waitcnt vmcnt(0)
	v_pk_add_f16 v2, v5, v3
	global_atomic_cmpswap v2, v[0:1], v[2:3], off glc
	s_waitcnt vmcnt(0)
	v_cmp_eq_u32_e32 vcc, v3, v2
	s_or_b64 s[0:1], vcc, s[0:1]
	v_mov_b32_e32 v3, v2
	s_andn2_b64 exec, exec, s[0:1]
	s_cbranch_execnz .LBB17_12
; %bb.13:
	s_or_b64 exec, exec, s[0:1]
	global_load_dword v3, v[0:1], off offset:4
	s_mov_b64 s[0:1], 0
.LBB17_14:                              ; =>This Inner Loop Header: Depth=1
	s_waitcnt vmcnt(0)
	v_pk_add_f16 v2, v4, v3
	global_atomic_cmpswap v2, v[0:1], v[2:3], off offset:4 glc
	s_waitcnt vmcnt(0)
	v_cmp_eq_u32_e32 vcc, v3, v2
	s_or_b64 s[0:1], vcc, s[0:1]
	v_mov_b32_e32 v3, v2
	s_andn2_b64 exec, exec, s[0:1]
	s_cbranch_execnz .LBB17_14
.LBB17_15:
	s_endpgm
	.section	.rodata,"a",@progbits
	.p2align	6, 0x0
	.amdhsa_kernel _ZN4vllm4gptq33gemm_half_q_half_gptq_4bit_kernelILb1ELi1EEEvPK6__halfPKjS6_S4_PS2_iiiibPKi
		.amdhsa_group_segment_fixed_size 256
		.amdhsa_private_segment_fixed_size 0
		.amdhsa_kernarg_size 72
		.amdhsa_user_sgpr_count 6
		.amdhsa_user_sgpr_private_segment_buffer 1
		.amdhsa_user_sgpr_dispatch_ptr 0
		.amdhsa_user_sgpr_queue_ptr 0
		.amdhsa_user_sgpr_kernarg_segment_ptr 1
		.amdhsa_user_sgpr_dispatch_id 0
		.amdhsa_user_sgpr_flat_scratch_init 0
		.amdhsa_user_sgpr_kernarg_preload_length 0
		.amdhsa_user_sgpr_kernarg_preload_offset 0
		.amdhsa_user_sgpr_private_segment_size 0
		.amdhsa_uses_dynamic_stack 0
		.amdhsa_system_sgpr_private_segment_wavefront_offset 0
		.amdhsa_system_sgpr_workgroup_id_x 1
		.amdhsa_system_sgpr_workgroup_id_y 1
		.amdhsa_system_sgpr_workgroup_id_z 1
		.amdhsa_system_sgpr_workgroup_info 0
		.amdhsa_system_vgpr_workitem_id 0
		.amdhsa_next_free_vgpr 60
		.amdhsa_next_free_sgpr 24
		.amdhsa_accum_offset 60
		.amdhsa_reserve_vcc 1
		.amdhsa_reserve_flat_scratch 0
		.amdhsa_float_round_mode_32 0
		.amdhsa_float_round_mode_16_64 0
		.amdhsa_float_denorm_mode_32 3
		.amdhsa_float_denorm_mode_16_64 3
		.amdhsa_dx10_clamp 1
		.amdhsa_ieee_mode 1
		.amdhsa_fp16_overflow 0
		.amdhsa_tg_split 0
		.amdhsa_exception_fp_ieee_invalid_op 0
		.amdhsa_exception_fp_denorm_src 0
		.amdhsa_exception_fp_ieee_div_zero 0
		.amdhsa_exception_fp_ieee_overflow 0
		.amdhsa_exception_fp_ieee_underflow 0
		.amdhsa_exception_fp_ieee_inexact 0
		.amdhsa_exception_int_div_zero 0
	.end_amdhsa_kernel
	.section	.text._ZN4vllm4gptq33gemm_half_q_half_gptq_4bit_kernelILb1ELi1EEEvPK6__halfPKjS6_S4_PS2_iiiibPKi,"axG",@progbits,_ZN4vllm4gptq33gemm_half_q_half_gptq_4bit_kernelILb1ELi1EEEvPK6__halfPKjS6_S4_PS2_iiiibPKi,comdat
.Lfunc_end17:
	.size	_ZN4vllm4gptq33gemm_half_q_half_gptq_4bit_kernelILb1ELi1EEEvPK6__halfPKjS6_S4_PS2_iiiibPKi, .Lfunc_end17-_ZN4vllm4gptq33gemm_half_q_half_gptq_4bit_kernelILb1ELi1EEEvPK6__halfPKjS6_S4_PS2_iiiibPKi
                                        ; -- End function
	.section	.AMDGPU.csdata,"",@progbits
; Kernel info:
; codeLenInByte = 4104
; NumSgprs: 28
; NumVgprs: 60
; NumAgprs: 0
; TotalNumVgprs: 60
; ScratchSize: 0
; MemoryBound: 0
; FloatMode: 240
; IeeeMode: 1
; LDSByteSize: 256 bytes/workgroup (compile time only)
; SGPRBlocks: 3
; VGPRBlocks: 7
; NumSGPRsForWavesPerEU: 28
; NumVGPRsForWavesPerEU: 60
; AccumOffset: 60
; Occupancy: 8
; WaveLimiterHint : 0
; COMPUTE_PGM_RSRC2:SCRATCH_EN: 0
; COMPUTE_PGM_RSRC2:USER_SGPR: 6
; COMPUTE_PGM_RSRC2:TRAP_HANDLER: 0
; COMPUTE_PGM_RSRC2:TGID_X_EN: 1
; COMPUTE_PGM_RSRC2:TGID_Y_EN: 1
; COMPUTE_PGM_RSRC2:TGID_Z_EN: 1
; COMPUTE_PGM_RSRC2:TIDIG_COMP_CNT: 0
; COMPUTE_PGM_RSRC3_GFX90A:ACCUM_OFFSET: 14
; COMPUTE_PGM_RSRC3_GFX90A:TG_SPLIT: 0
	.section	.text._ZN4vllm4gptq33gemm_half_q_half_gptq_8bit_kernelILb1ELi1EEEvPK6__halfPKjS6_S4_PS2_iiiibPKi,"axG",@progbits,_ZN4vllm4gptq33gemm_half_q_half_gptq_8bit_kernelILb1ELi1EEEvPK6__halfPKjS6_S4_PS2_iiiibPKi,comdat
	.protected	_ZN4vllm4gptq33gemm_half_q_half_gptq_8bit_kernelILb1ELi1EEEvPK6__halfPKjS6_S4_PS2_iiiibPKi ; -- Begin function _ZN4vllm4gptq33gemm_half_q_half_gptq_8bit_kernelILb1ELi1EEEvPK6__halfPKjS6_S4_PS2_iiiibPKi
	.globl	_ZN4vllm4gptq33gemm_half_q_half_gptq_8bit_kernelILb1ELi1EEEvPK6__halfPKjS6_S4_PS2_iiiibPKi
	.p2align	8
	.type	_ZN4vllm4gptq33gemm_half_q_half_gptq_8bit_kernelILb1ELi1EEEvPK6__halfPKjS6_S4_PS2_iiiibPKi,@function
_ZN4vllm4gptq33gemm_half_q_half_gptq_8bit_kernelILb1ELi1EEEvPK6__halfPKjS6_S4_PS2_iiiibPKi: ; @_ZN4vllm4gptq33gemm_half_q_half_gptq_8bit_kernelILb1ELi1EEEvPK6__halfPKjS6_S4_PS2_iiiibPKi
; %bb.0:
	s_load_dwordx4 s[0:3], s[4:5], 0x2c
	s_load_dwordx8 s[12:19], s[4:5], 0x8
	s_lshl_b32 s22, s8, 7
	s_add_i32 s8, s22, 0x80
	v_cvt_f64_u32_e32 v[2:3], s8
	s_waitcnt lgkmcnt(0)
	v_cvt_f64_i32_e32 v[4:5], s1
	v_min_f64 v[2:3], v[2:3], v[4:5]
	v_cvt_i32_f64_e32 v1, v[2:3]
	v_add_u32_e32 v2, s22, v0
	v_readfirstlane_b32 s23, v1
	v_cmp_lt_u32_e32 vcc, v2, v1
	s_and_saveexec_b64 s[8:9], vcc
	s_cbranch_execz .LBB18_4
; %bb.1:
	s_load_dwordx2 s[20:21], s[4:5], 0x40
	s_load_dwordx2 s[10:11], s[4:5], 0x0
	v_mov_b32_e32 v3, 0
	s_waitcnt lgkmcnt(0)
	s_cmp_eq_u64 s[20:21], 0
	s_cbranch_scc1 .LBB18_3
; %bb.2:
	v_lshlrev_b64 v[2:3], 2, v[2:3]
	v_mov_b32_e32 v1, s21
	v_add_co_u32_e32 v2, vcc, s20, v2
	v_addc_co_u32_e32 v3, vcc, v1, v3, vcc
	global_load_dword v2, v[2:3], off
	s_waitcnt vmcnt(0)
	v_ashrrev_i32_e32 v3, 31, v2
.LBB18_3:
	s_mul_i32 s4, s7, s1
	s_ashr_i32 s5, s4, 31
	s_lshl_b64 s[4:5], s[4:5], 1
	s_add_u32 s4, s10, s4
	s_addc_u32 s5, s11, s5
	v_lshlrev_b64 v[2:3], 1, v[2:3]
	v_mov_b32_e32 v1, s5
	v_add_co_u32_e32 v2, vcc, s4, v2
	v_addc_co_u32_e32 v3, vcc, v1, v3, vcc
	global_load_ushort v1, v[2:3], off
	v_lshlrev_b32_e32 v2, 1, v0
	s_waitcnt vmcnt(0)
	ds_write_b16 v2, v1
.LBB18_4:
	s_or_b64 exec, exec, s[8:9]
	v_lshlrev_b32_e32 v0, 2, v0
	v_lshl_add_u32 v20, s6, 9, v0
	v_cmp_gt_i32_e32 vcc, s0, v20
	s_and_saveexec_b64 s[4:5], vcc
	s_cbranch_execz .LBB18_14
; %bb.5:
	s_abs_i32 s5, s2
	v_cvt_f32_u32_e32 v0, s5
	s_mov_b32 s4, 0
	v_mov_b32_e32 v42, 0
	s_cmp_ge_i32 s22, s23
	v_rcp_iflag_f32_e32 v0, v0
	v_mov_b32_e32 v52, 0
	s_waitcnt lgkmcnt(0)
	s_barrier
	v_mul_f32_e32 v0, 0x4f7ffffe, v0
	v_cvt_u32_f32_e32 v0, v0
	v_readfirstlane_b32 s6, v0
	s_cbranch_scc1 .LBB18_10
; %bb.6:
	s_sub_i32 s9, 0, s5
	s_mul_i32 s9, s9, s6
	s_mul_hi_u32 s9, s6, s9
	s_ashr_i32 s8, s1, 31
	s_abs_i32 s1, s1
	s_add_i32 s6, s6, s9
	s_ashr_i32 s2, s2, 31
	s_mul_hi_u32 s6, s1, s6
	s_xor_b32 s2, s8, s2
	s_mul_i32 s8, s6, s5
	s_sub_i32 s1, s1, s8
	s_add_i32 s8, s6, 1
	s_sub_i32 s9, s1, s5
	s_cmp_ge_u32 s1, s5
	s_cselect_b32 s6, s8, s6
	s_cselect_b32 s1, s9, s1
	s_add_i32 s8, s6, 1
	s_cmp_ge_u32 s1, s5
	s_cselect_b32 s1, s8, s6
	s_xor_b32 s1, s1, s2
	s_sub_i32 s5, s1, s2
	v_cvt_f32_u32_e32 v0, s5
	s_bitcmp1_b32 s3, 0
	s_cselect_b64 s[2:3], -1, 0
	s_sub_i32 s1, 0, s5
	v_rcp_iflag_f32_e32 v0, v0
	s_xor_b64 s[2:3], s[2:3], -1
	v_ashrrev_i32_e32 v34, 2, v20
	v_mov_b32_e32 v2, s15
	v_mul_f32_e32 v0, 0x4f7ffffe, v0
	v_cvt_u32_f32_e32 v0, v0
	v_mov_b32_e32 v4, s17
	v_cndmask_b32_e64 v35, 0, 1, s[2:3]
	v_ashrrev_i32_e32 v21, 31, v20
	v_readfirstlane_b32 s6, v0
	s_mul_i32 s1, s1, s6
	s_mul_hi_u32 s1, s6, s1
	s_add_i32 s6, s6, s1
	s_mul_hi_u32 s1, s22, s6
	s_mul_i32 s6, s1, s5
	s_sub_i32 s6, s22, s6
	s_add_i32 s8, s1, 1
	s_sub_i32 s9, s6, s5
	s_cmp_ge_u32 s6, s5
	s_cselect_b32 s1, s8, s1
	s_cselect_b32 s6, s9, s6
	s_add_i32 s8, s1, 1
	s_cmp_ge_u32 s6, s5
	s_cselect_b32 s6, s8, s1
	s_mul_i32 s1, s6, s0
	s_ashr_i32 s8, s1, 31
	s_lshr_b32 s8, s8, 30
	s_add_i32 s8, s1, s8
	s_ashr_i32 s8, s8, 2
	v_add_u32_e32 v0, s8, v34
	v_ashrrev_i32_e32 v1, 31, v0
	v_lshlrev_b64 v[0:1], 2, v[0:1]
	v_add_co_u32_e32 v0, vcc, s14, v0
	v_addc_co_u32_e32 v1, vcc, v2, v1, vcc
	v_add_u32_e32 v2, s1, v20
	v_ashrrev_i32_e32 v3, 31, v2
	v_lshlrev_b64 v[2:3], 1, v[2:3]
	v_add_co_u32_e32 v2, vcc, s16, v2
	global_load_dword v8, v[0:1], off
	v_addc_co_u32_e32 v3, vcc, v4, v3, vcc
	global_load_dwordx2 v[22:23], v[2:3], off
	s_lshr_b32 s2, s22, 2
	s_mul_i32 s10, s2, s0
	s_ashr_i32 s11, s10, 31
	v_mov_b32_e32 v3, s11
	v_add_co_u32_e32 v2, vcc, s10, v20
	v_lshlrev_b64 v[0:1], 2, v[20:21]
	s_lshl_b64 s[24:25], s[10:11], 2
	v_addc_co_u32_e32 v3, vcc, v3, v21, vcc
	v_mov_b32_e32 v4, s25
	v_add_co_u32_e32 v6, vcc, s24, v0
	v_addc_co_u32_e32 v7, vcc, v4, v1, vcc
	s_ashr_i32 s1, s0, 31
	v_lshlrev_b64 v[4:5], 2, v[2:3]
	v_add_co_u32_e32 v21, vcc, 8, v6
	s_add_i32 s8, s5, s22
	s_lshl_b64 s[2:3], s[0:1], 5
	s_lshl_b64 s[20:21], s[0:1], 2
	v_addc_co_u32_e32 v36, vcc, 0, v7, vcc
	v_mad_i64_i32 v[2:3], s[10:11], s0, 12, v[4:5]
	s_add_u32 s9, s20, s24
	v_mad_i64_i32 v[6:7], s[10:11], s0, 20, v[4:5]
	v_add_co_u32_e32 v37, vcc, 8, v2
	s_addc_u32 s20, s21, s25
	s_lshl_b64 s[10:11], s[0:1], 3
	v_addc_co_u32_e32 v38, vcc, 0, v3, vcc
	v_mov_b32_e32 v2, s20
	s_add_u32 s20, s10, s24
	v_add_co_u32_e32 v39, vcc, s9, v0
	v_addc_co_u32_e32 v40, vcc, v2, v1, vcc
	s_addc_u32 s9, s11, s25
	v_mov_b32_e32 v2, s9
	v_add_co_u32_e32 v41, vcc, s20, v0
	s_lshl_b64 s[10:11], s[0:1], 4
	v_addc_co_u32_e32 v43, vcc, v2, v1, vcc
	v_mov_b32_e32 v3, s11
	v_add_co_u32_e32 v0, vcc, s10, v4
	v_addc_co_u32_e32 v1, vcc, v3, v5, vcc
	v_add_co_u32_e32 v44, vcc, 8, v0
	v_addc_co_u32_e32 v45, vcc, 0, v1, vcc
	;; [unrolled: 2-line block ×3, first 2 shown]
	v_mad_i64_i32 v[6:7], s[10:11], s0, 24, v[4:5]
	v_add_co_u32_e32 v48, vcc, 8, v6
	v_addc_co_u32_e32 v49, vcc, 0, v7, vcc
	v_mad_i64_i32 v[4:5], s[10:11], s0, 28, v[4:5]
	v_add_co_u32_e32 v50, vcc, 8, v4
	v_addc_co_u32_e32 v51, vcc, 0, v5, vcc
	v_mov_b32_e32 v52, 0
	v_mov_b32_e32 v42, 0
	s_waitcnt vmcnt(1)
	v_and_b32_e32 v0, 0xff, v8
	v_bfe_u32 v1, v8, 8, 8
	v_bfe_u32 v2, v8, 16, 8
	v_lshrrev_b32_e32 v3, 24, v8
	s_branch .LBB18_8
.LBB18_7:                               ;   in Loop: Header=BB18_8 Depth=1
	v_mov_b32_e32 v53, s13
	v_add_co_u32_e32 v4, vcc, s12, v21
	v_addc_co_u32_e32 v5, vcc, v53, v36, vcc
	global_load_dwordx4 v[4:7], v[4:5], off offset:-8
	v_add_co_u32_e32 v8, vcc, s12, v39
	v_addc_co_u32_e32 v9, vcc, v53, v40, vcc
	global_load_dwordx4 v[12:15], v[8:9], off
	v_mov_b32_e32 v58, s4
	ds_read_b128 v[16:19], v58
	ds_read_b128 v[8:11], v58 offset:16
	v_add_u32_e32 v56, v1, v35
	v_add_u32_e32 v54, v3, v35
	;; [unrolled: 1-line block ×3, first 2 shown]
	s_waitcnt lgkmcnt(1)
	v_cvt_f32_f16_e32 v28, v17
	v_cvt_f32_f16_sdwa v30, v17 dst_sel:DWORD dst_unused:UNUSED_PAD src0_sel:WORD_1
	v_add_u32_e32 v57, v0, v35
	v_cvt_f32_f16_e32 v26, v16
	v_cvt_f32_f16_sdwa v16, v16 dst_sel:DWORD dst_unused:UNUSED_PAD src0_sel:WORD_1
	v_add_co_u32_e32 v24, vcc, s12, v41
	v_addc_co_u32_e32 v25, vcc, v53, v43, vcc
	s_add_i32 s22, s22, 32
	s_waitcnt vmcnt(1)
	v_sub_u32_sdwa v17, v5, v56 dst_sel:DWORD dst_unused:UNUSED_PAD src0_sel:BYTE_0 src1_sel:DWORD
	v_sub_u32_sdwa v29, v7, v54 dst_sel:DWORD dst_unused:UNUSED_PAD src0_sel:BYTE_0 src1_sel:DWORD
	;; [unrolled: 1-line block ×3, first 2 shown]
	v_cvt_f32_i32_e32 v17, v17
	v_cvt_f32_i32_e32 v29, v29
	;; [unrolled: 1-line block ×3, first 2 shown]
	v_sub_u32_sdwa v27, v4, v57 dst_sel:DWORD dst_unused:UNUSED_PAD src0_sel:BYTE_0 src1_sel:DWORD
	v_cvt_f16_f32_e32 v17, v17
	v_cvt_f16_f32_e32 v29, v29
	;; [unrolled: 1-line block ×3, first 2 shown]
	v_cvt_f32_i32_e32 v27, v27
	v_sub_u32_sdwa v59, v5, v56 dst_sel:DWORD dst_unused:UNUSED_PAD src0_sel:BYTE_1 src1_sel:DWORD
	v_cvt_f32_f16_e32 v33, v17
	v_cvt_f32_f16_e32 v61, v29
	;; [unrolled: 1-line block ×3, first 2 shown]
	v_sub_u32_sdwa v17, v4, v57 dst_sel:DWORD dst_unused:UNUSED_PAD src0_sel:BYTE_1 src1_sel:DWORD
	v_sub_u32_sdwa v29, v7, v54 dst_sel:DWORD dst_unused:UNUSED_PAD src0_sel:BYTE_1 src1_sel:DWORD
	;; [unrolled: 1-line block ×3, first 2 shown]
	v_cvt_f16_f32_e32 v27, v27
	v_cvt_f32_i32_e32 v59, v59
	v_cvt_f32_i32_e32 v17, v17
	;; [unrolled: 1-line block ×4, first 2 shown]
	v_cvt_f32_f16_e32 v32, v27
	v_cvt_f16_f32_e32 v59, v59
	v_cvt_f16_f32_e32 v17, v17
	;; [unrolled: 1-line block ×4, first 2 shown]
	v_pk_fma_f32 v[32:33], v[32:33], v[26:27], 0 op_sel_hi:[1,0,0]
	v_pk_fma_f32 v[26:27], v[60:61], v[26:27], 0 op_sel_hi:[1,0,0]
	v_cvt_f32_f16_e32 v61, v59
	v_cvt_f32_f16_e32 v60, v17
	;; [unrolled: 1-line block ×4, first 2 shown]
	v_sub_u32_sdwa v29, v5, v56 dst_sel:DWORD dst_unused:UNUSED_PAD src0_sel:BYTE_2 src1_sel:DWORD
	v_sub_u32_sdwa v31, v4, v57 dst_sel:DWORD dst_unused:UNUSED_PAD src0_sel:BYTE_2 src1_sel:DWORD
	v_pk_fma_f32 v[32:33], v[60:61], v[16:17], v[32:33] op_sel_hi:[1,0,1]
	v_sub_u32_sdwa v59, v7, v54 dst_sel:DWORD dst_unused:UNUSED_PAD src0_sel:BYTE_2 src1_sel:DWORD
	v_pk_fma_f32 v[16:17], v[62:63], v[16:17], v[26:27] op_sel_hi:[1,0,1]
	v_sub_u32_sdwa v26, v6, v55 dst_sel:DWORD dst_unused:UNUSED_PAD src0_sel:BYTE_2 src1_sel:DWORD
	v_sub_u32_sdwa v5, v5, v56 dst_sel:DWORD dst_unused:UNUSED_PAD src0_sel:BYTE_3 src1_sel:DWORD
	v_sub_u32_sdwa v4, v4, v57 dst_sel:DWORD dst_unused:UNUSED_PAD src0_sel:BYTE_3 src1_sel:DWORD
	v_cvt_f32_i32_e32 v27, v29
	v_cvt_f32_i32_e32 v29, v31
	;; [unrolled: 1-line block ×6, first 2 shown]
	v_sub_u32_sdwa v7, v7, v54 dst_sel:DWORD dst_unused:UNUSED_PAD src0_sel:BYTE_3 src1_sel:DWORD
	v_sub_u32_sdwa v6, v6, v55 dst_sel:DWORD dst_unused:UNUSED_PAD src0_sel:BYTE_3 src1_sel:DWORD
	v_cvt_f16_f32_e32 v27, v27
	v_cvt_f16_f32_e32 v29, v29
	v_cvt_f32_i32_e32 v7, v7
	v_cvt_f32_i32_e32 v6, v6
	v_cvt_f16_f32_e32 v31, v31
	v_cvt_f16_f32_e32 v26, v26
	;; [unrolled: 1-line block ×4, first 2 shown]
	v_cvt_f32_f16_e32 v5, v27
	v_cvt_f32_f16_e32 v4, v29
	v_cvt_f16_f32_e32 v61, v7
	v_cvt_f16_f32_e32 v64, v6
	v_cvt_f32_f16_e32 v7, v31
	v_cvt_f32_f16_e32 v6, v26
	;; [unrolled: 1-line block ×4, first 2 shown]
	v_pk_fma_f32 v[4:5], v[4:5], v[28:29], v[32:33] op_sel_hi:[1,0,1]
	v_pk_fma_f32 v[16:17], v[6:7], v[28:29], v[16:17] op_sel_hi:[1,0,1]
	s_waitcnt vmcnt(0)
	v_sub_u32_sdwa v62, v12, v57 dst_sel:DWORD dst_unused:UNUSED_PAD src0_sel:BYTE_0 src1_sel:DWORD
	v_pk_fma_f32 v[26:27], v[26:27], v[30:31], v[4:5] op_sel_hi:[1,0,1]
	global_load_dwordx4 v[4:7], v[24:25], off
	v_sub_u32_sdwa v63, v13, v56 dst_sel:DWORD dst_unused:UNUSED_PAD src0_sel:BYTE_0 src1_sel:DWORD
	v_cvt_f32_i32_e32 v25, v62
	v_cvt_f32_i32_e32 v28, v63
	v_sub_u32_sdwa v24, v15, v54 dst_sel:DWORD dst_unused:UNUSED_PAD src0_sel:BYTE_0 src1_sel:DWORD
	v_sub_u32_sdwa v29, v14, v55 dst_sel:DWORD dst_unused:UNUSED_PAD src0_sel:BYTE_0 src1_sel:DWORD
	v_cvt_f32_i32_e32 v24, v24
	v_cvt_f32_i32_e32 v29, v29
	v_cvt_f16_f32_e32 v25, v25
	v_cvt_f16_f32_e32 v28, v28
	;; [unrolled: 1-line block ×4, first 2 shown]
	v_cvt_f32_f16_e32 v24, v25
	v_cvt_f32_f16_e32 v25, v28
	;; [unrolled: 1-line block ×5, first 2 shown]
	v_sub_u32_sdwa v32, v15, v54 dst_sel:DWORD dst_unused:UNUSED_PAD src0_sel:BYTE_1 src1_sel:DWORD
	v_pk_fma_f32 v[24:25], v[24:25], v[28:29], v[26:27] op_sel_hi:[1,0,1]
	v_sub_u32_sdwa v26, v13, v56 dst_sel:DWORD dst_unused:UNUSED_PAD src0_sel:BYTE_1 src1_sel:DWORD
	v_sub_u32_sdwa v27, v12, v57 dst_sel:DWORD dst_unused:UNUSED_PAD src0_sel:BYTE_1 src1_sel:DWORD
	v_cvt_f32_i32_e32 v26, v26
	v_cvt_f32_i32_e32 v27, v27
	v_pk_fma_f32 v[16:17], v[60:61], v[30:31], v[16:17] op_sel_hi:[1,0,1]
	v_cvt_f32_f16_e32 v30, v29
	v_sub_u32_sdwa v29, v14, v55 dst_sel:DWORD dst_unused:UNUSED_PAD src0_sel:BYTE_1 src1_sel:DWORD
	v_cvt_f32_f16_e32 v31, v31
	v_cvt_f32_i32_e32 v29, v29
	v_cvt_f32_i32_e32 v32, v32
	v_cvt_f16_f32_e32 v26, v26
	v_cvt_f16_f32_e32 v33, v27
	;; [unrolled: 1-line block ×4, first 2 shown]
	v_cvt_f32_f16_e32 v27, v26
	v_cvt_f32_f16_e32 v26, v33
	v_cvt_f32_f16_sdwa v18, v18 dst_sel:DWORD dst_unused:UNUSED_PAD src0_sel:WORD_1
	v_pk_fma_f32 v[28:29], v[30:31], v[28:29], v[16:17] op_sel_hi:[1,0,1]
	v_sub_u32_sdwa v16, v13, v56 dst_sel:DWORD dst_unused:UNUSED_PAD src0_sel:BYTE_2 src1_sel:DWORD
	v_sub_u32_sdwa v17, v12, v57 dst_sel:DWORD dst_unused:UNUSED_PAD src0_sel:BYTE_2 src1_sel:DWORD
	v_cvt_f32_i32_e32 v16, v16
	v_cvt_f32_i32_e32 v17, v17
	v_sub_u32_sdwa v12, v12, v57 dst_sel:DWORD dst_unused:UNUSED_PAD src0_sel:BYTE_3 src1_sel:DWORD
	v_sub_u32_sdwa v13, v13, v56 dst_sel:DWORD dst_unused:UNUSED_PAD src0_sel:BYTE_3 src1_sel:DWORD
	v_cvt_f32_i32_e32 v12, v12
	v_cvt_f32_f16_e32 v31, v32
	v_pk_fma_f32 v[32:33], v[26:27], v[18:19], v[24:25] op_sel_hi:[1,0,1]
	v_sub_u32_sdwa v24, v15, v54 dst_sel:DWORD dst_unused:UNUSED_PAD src0_sel:BYTE_2 src1_sel:DWORD
	v_cvt_f32_i32_e32 v13, v13
	v_sub_u32_sdwa v15, v15, v54 dst_sel:DWORD dst_unused:UNUSED_PAD src0_sel:BYTE_3 src1_sel:DWORD
	v_cvt_f16_f32_e32 v16, v16
	v_cvt_f16_f32_e32 v17, v17
	v_cvt_f32_i32_e32 v15, v15
	v_sub_u32_sdwa v25, v14, v55 dst_sel:DWORD dst_unused:UNUSED_PAD src0_sel:BYTE_2 src1_sel:DWORD
	v_cvt_f32_f16_e32 v30, v59
	v_cvt_f32_i32_e32 v24, v24
	v_cvt_f32_i32_e32 v25, v25
	v_cvt_f16_f32_e32 v12, v12
	v_sub_u32_sdwa v14, v14, v55 dst_sel:DWORD dst_unused:UNUSED_PAD src0_sel:BYTE_3 src1_sel:DWORD
	v_cvt_f16_f32_e32 v13, v13
	v_cvt_f32_f16_e32 v61, v16
	v_cvt_f32_f16_e32 v60, v17
	;; [unrolled: 1-line block ×3, first 2 shown]
	v_cvt_f32_i32_e32 v14, v14
	v_cvt_f16_f32_e32 v15, v15
	v_cvt_f16_f32_e32 v26, v24
	;; [unrolled: 1-line block ×3, first 2 shown]
	v_pk_fma_f32 v[24:25], v[30:31], v[18:19], v[28:29] op_sel_hi:[1,0,1]
	v_cvt_f32_f16_e32 v18, v12
	v_add_co_u32_e32 v12, vcc, s12, v37
	v_cvt_f32_f16_sdwa v28, v19 dst_sel:DWORD dst_unused:UNUSED_PAD src0_sel:WORD_1
	v_cvt_f32_f16_e32 v19, v13
	v_addc_co_u32_e32 v13, vcc, v53, v38, vcc
	v_pk_fma_f32 v[30:31], v[60:61], v[16:17], v[32:33] op_sel_hi:[1,0,1]
	v_cvt_f16_f32_e32 v17, v14
	v_cvt_f32_f16_e32 v33, v15
	global_load_dwordx4 v[12:15], v[12:13], off offset:-8
	v_cvt_f32_f16_e32 v27, v26
	v_cvt_f32_f16_e32 v26, v59
	;; [unrolled: 1-line block ×3, first 2 shown]
	v_pk_fma_f32 v[18:19], v[18:19], v[28:29], v[30:31] op_sel_hi:[1,0,1]
	s_waitcnt vmcnt(1)
	v_sub_u32_sdwa v30, v6, v55 dst_sel:DWORD dst_unused:UNUSED_PAD src0_sel:BYTE_1 src1_sel:DWORD
	v_pk_fma_f32 v[16:17], v[26:27], v[16:17], v[24:25] op_sel_hi:[1,0,1]
	v_sub_u32_sdwa v24, v5, v56 dst_sel:DWORD dst_unused:UNUSED_PAD src0_sel:BYTE_0 src1_sel:DWORD
	v_sub_u32_sdwa v25, v4, v57 dst_sel:DWORD dst_unused:UNUSED_PAD src0_sel:BYTE_0 src1_sel:DWORD
	v_cvt_f32_i32_e32 v25, v25
	v_cvt_f32_i32_e32 v24, v24
	v_sub_u32_sdwa v26, v5, v56 dst_sel:DWORD dst_unused:UNUSED_PAD src0_sel:BYTE_1 src1_sel:DWORD
	v_sub_u32_sdwa v27, v4, v57 dst_sel:DWORD dst_unused:UNUSED_PAD src0_sel:BYTE_1 src1_sel:DWORD
	v_pk_fma_f32 v[16:17], v[32:33], v[28:29], v[16:17] op_sel_hi:[1,0,1]
	v_cvt_f32_i32_e32 v26, v26
	v_cvt_f32_i32_e32 v27, v27
	v_cvt_f16_f32_e32 v24, v24
	v_cvt_f16_f32_e32 v28, v25
	;; [unrolled: 1-line block ×4, first 2 shown]
	v_cvt_f32_f16_e32 v25, v24
	v_cvt_f32_f16_e32 v24, v28
	s_waitcnt lgkmcnt(0)
	v_cvt_f32_f16_e32 v26, v8
	v_cvt_f32_f16_e32 v29, v29
	;; [unrolled: 1-line block ×3, first 2 shown]
	v_cvt_f32_f16_sdwa v8, v8 dst_sel:DWORD dst_unused:UNUSED_PAD src0_sel:WORD_1
	v_pk_fma_f32 v[24:25], v[24:25], v[26:27], 0 op_sel_hi:[1,0,0]
	v_sub_u32_sdwa v27, v7, v54 dst_sel:DWORD dst_unused:UNUSED_PAD src0_sel:BYTE_0 src1_sel:DWORD
	v_cvt_f32_i32_e32 v27, v27
	v_pk_fma_f32 v[24:25], v[28:29], v[8:9], v[24:25] op_sel_hi:[1,0,1]
	v_sub_u32_sdwa v29, v7, v54 dst_sel:DWORD dst_unused:UNUSED_PAD src0_sel:BYTE_1 src1_sel:DWORD
	v_cvt_f32_i32_e32 v29, v29
	v_cvt_f16_f32_e32 v27, v27
	v_cvt_f32_i32_e32 v30, v30
	v_sub_u32_sdwa v28, v6, v55 dst_sel:DWORD dst_unused:UNUSED_PAD src0_sel:BYTE_0 src1_sel:DWORD
	v_cvt_f16_f32_e32 v31, v29
	v_cvt_f32_f16_e32 v29, v27
	v_cvt_f16_f32_e32 v27, v30
	v_cvt_f32_i32_e32 v28, v28
	v_sub_u32_sdwa v30, v5, v56 dst_sel:DWORD dst_unused:UNUSED_PAD src0_sel:BYTE_2 src1_sel:DWORD
	v_cvt_f32_i32_e32 v32, v30
	v_cvt_f32_f16_e32 v30, v27
	v_sub_u32_sdwa v27, v4, v57 dst_sel:DWORD dst_unused:UNUSED_PAD src0_sel:BYTE_2 src1_sel:DWORD
	v_cvt_f32_i32_e32 v27, v27
	v_sub_u32_sdwa v4, v4, v57 dst_sel:DWORD dst_unused:UNUSED_PAD src0_sel:BYTE_3 src1_sel:DWORD
	v_cvt_f16_f32_e32 v28, v28
	v_sub_u32_sdwa v33, v7, v54 dst_sel:DWORD dst_unused:UNUSED_PAD src0_sel:BYTE_2 src1_sel:DWORD
	v_cvt_f32_i32_e32 v4, v4
	v_cvt_f32_i32_e32 v59, v33
	v_sub_u32_sdwa v33, v6, v55 dst_sel:DWORD dst_unused:UNUSED_PAD src0_sel:BYTE_2 src1_sel:DWORD
	v_cvt_f16_f32_e32 v32, v32
	v_cvt_f32_i32_e32 v60, v33
	v_cvt_f16_f32_e32 v27, v27
	v_cvt_f32_f16_e32 v28, v28
	v_sub_u32_sdwa v5, v5, v56 dst_sel:DWORD dst_unused:UNUSED_PAD src0_sel:BYTE_3 src1_sel:DWORD
	v_cvt_f16_f32_e32 v4, v4
	v_cvt_f32_f16_e32 v31, v31
	v_sub_u32_sdwa v7, v7, v54 dst_sel:DWORD dst_unused:UNUSED_PAD src0_sel:BYTE_3 src1_sel:DWORD
	v_sub_u32_sdwa v6, v6, v55 dst_sel:DWORD dst_unused:UNUSED_PAD src0_sel:BYTE_3 src1_sel:DWORD
	v_cvt_f32_i32_e32 v5, v5
	v_cvt_f32_f16_e32 v33, v32
	v_cvt_f16_f32_e32 v61, v60
	v_cvt_f32_f16_e32 v32, v27
	v_cvt_f32_f16_e32 v60, v9
	v_cvt_f32_i32_e32 v7, v7
	v_cvt_f32_i32_e32 v6, v6
	v_pk_fma_f32 v[26:27], v[28:29], v[26:27], 0 op_sel_hi:[1,0,0]
	v_cvt_f32_f16_e32 v28, v4
	v_add_co_u32_e32 v4, vcc, s12, v44
	v_pk_fma_f32 v[26:27], v[30:31], v[8:9], v[26:27] op_sel_hi:[1,0,1]
	v_cvt_f16_f32_e32 v8, v5
	v_addc_co_u32_e32 v5, vcc, v53, v45, vcc
	v_pk_fma_f32 v[24:25], v[32:33], v[60:61], v[24:25] op_sel_hi:[1,0,1]
	v_cvt_f16_f32_e32 v30, v7
	v_cvt_f16_f32_e32 v32, v6
	global_load_dwordx4 v[4:7], v[4:5], off offset:-8
	v_cvt_f16_f32_e32 v59, v59
	v_cvt_f32_f16_e32 v62, v61
	s_waitcnt vmcnt(1)
	v_sub_u32_sdwa v29, v13, v56 dst_sel:DWORD dst_unused:UNUSED_PAD src0_sel:BYTE_0 src1_sel:DWORD
	v_cvt_f32_i32_e32 v33, v29
	v_cvt_f32_f16_e32 v63, v59
	v_sub_u32_sdwa v29, v12, v57 dst_sel:DWORD dst_unused:UNUSED_PAD src0_sel:BYTE_0 src1_sel:DWORD
	v_cvt_f32_i32_e32 v59, v29
	v_cvt_f32_f16_e32 v29, v8
	v_cvt_f32_f16_e32 v31, v30
	;; [unrolled: 1-line block ×3, first 2 shown]
	v_cvt_f32_f16_sdwa v8, v9 dst_sel:DWORD dst_unused:UNUSED_PAD src0_sel:WORD_1
	v_pk_fma_f32 v[26:27], v[62:63], v[60:61], v[26:27] op_sel_hi:[1,0,1]
	v_cvt_f16_f32_e32 v33, v33
	v_cvt_f16_f32_e32 v59, v59
	v_pk_fma_f32 v[24:25], v[28:29], v[8:9], v[24:25] op_sel_hi:[1,0,1]
	v_pk_fma_f32 v[8:9], v[30:31], v[8:9], v[26:27] op_sel_hi:[1,0,1]
	v_sub_u32_sdwa v26, v14, v55 dst_sel:DWORD dst_unused:UNUSED_PAD src0_sel:BYTE_0 src1_sel:DWORD
	v_sub_u32_sdwa v27, v15, v54 dst_sel:DWORD dst_unused:UNUSED_PAD src0_sel:BYTE_0 src1_sel:DWORD
	v_cvt_f32_i32_e32 v26, v26
	v_cvt_f32_i32_e32 v27, v27
	v_sub_u32_sdwa v28, v13, v56 dst_sel:DWORD dst_unused:UNUSED_PAD src0_sel:BYTE_1 src1_sel:DWORD
	v_sub_u32_sdwa v29, v12, v57 dst_sel:DWORD dst_unused:UNUSED_PAD src0_sel:BYTE_1 src1_sel:DWORD
	v_cvt_f32_i32_e32 v28, v28
	v_cvt_f32_i32_e32 v29, v29
	v_cvt_f16_f32_e32 v26, v26
	v_cvt_f16_f32_e32 v27, v27
	;; [unrolled: 1-line block ×4, first 2 shown]
	v_cvt_f32_f16_e32 v60, v10
	v_cvt_f32_f16_e32 v26, v26
	;; [unrolled: 1-line block ×7, first 2 shown]
	v_cvt_f32_f16_sdwa v10, v10 dst_sel:DWORD dst_unused:UNUSED_PAD src0_sel:WORD_1
	v_pk_fma_f32 v[8:9], v[26:27], v[60:61], v[8:9] op_sel_hi:[1,0,1]
	v_sub_u32_sdwa v27, v14, v55 dst_sel:DWORD dst_unused:UNUSED_PAD src0_sel:BYTE_1 src1_sel:DWORD
	v_sub_u32_sdwa v26, v15, v54 dst_sel:DWORD dst_unused:UNUSED_PAD src0_sel:BYTE_1 src1_sel:DWORD
	v_cvt_f32_i32_e32 v27, v27
	v_pk_fma_f32 v[24:25], v[32:33], v[60:61], v[24:25] op_sel_hi:[1,0,1]
	v_cvt_f32_i32_e32 v26, v26
	v_pk_fma_f32 v[24:25], v[28:29], v[10:11], v[24:25] op_sel_hi:[1,0,1]
	v_sub_u32_sdwa v28, v13, v56 dst_sel:DWORD dst_unused:UNUSED_PAD src0_sel:BYTE_2 src1_sel:DWORD
	v_cvt_f32_i32_e32 v28, v28
	v_cvt_f16_f32_e32 v29, v27
	v_sub_u32_sdwa v27, v12, v57 dst_sel:DWORD dst_unused:UNUSED_PAD src0_sel:BYTE_2 src1_sel:DWORD
	v_cvt_f16_f32_e32 v26, v26
	v_cvt_f32_i32_e32 v30, v27
	v_cvt_f16_f32_e32 v28, v28
	v_sub_u32_sdwa v13, v13, v56 dst_sel:DWORD dst_unused:UNUSED_PAD src0_sel:BYTE_3 src1_sel:DWORD
	v_cvt_f32_f16_e32 v27, v26
	v_cvt_f32_f16_e32 v26, v29
	v_cvt_f16_f32_e32 v30, v30
	v_cvt_f32_f16_e32 v29, v28
	v_sub_u32_sdwa v28, v15, v54 dst_sel:DWORD dst_unused:UNUSED_PAD src0_sel:BYTE_2 src1_sel:DWORD
	v_cvt_f32_i32_e32 v31, v28
	v_sub_u32_sdwa v28, v14, v55 dst_sel:DWORD dst_unused:UNUSED_PAD src0_sel:BYTE_2 src1_sel:DWORD
	v_sub_u32_sdwa v12, v12, v57 dst_sel:DWORD dst_unused:UNUSED_PAD src0_sel:BYTE_3 src1_sel:DWORD
	v_cvt_f32_i32_e32 v32, v28
	v_cvt_f32_f16_e32 v28, v30
	v_cvt_f32_f16_e32 v30, v11
	v_pk_fma_f32 v[8:9], v[26:27], v[10:11], v[8:9] op_sel_hi:[1,0,1]
	v_sub_u32_sdwa v15, v15, v54 dst_sel:DWORD dst_unused:UNUSED_PAD src0_sel:BYTE_3 src1_sel:DWORD
	v_sub_u32_sdwa v14, v14, v55 dst_sel:DWORD dst_unused:UNUSED_PAD src0_sel:BYTE_3 src1_sel:DWORD
	v_cvt_f32_f16_sdwa v10, v11 dst_sel:DWORD dst_unused:UNUSED_PAD src0_sel:WORD_1
	v_cvt_f32_i32_e32 v11, v13
	v_cvt_f32_i32_e32 v12, v12
	;; [unrolled: 1-line block ×4, first 2 shown]
	v_cvt_f16_f32_e32 v31, v31
	v_cvt_f16_f32_e32 v32, v32
	;; [unrolled: 1-line block ×6, first 2 shown]
	v_cvt_f32_f16_e32 v27, v31
	v_cvt_f32_f16_e32 v26, v32
	;; [unrolled: 1-line block ×6, first 2 shown]
	v_pk_fma_f32 v[24:25], v[28:29], v[30:31], v[24:25] op_sel_hi:[1,0,1]
	v_pk_fma_f32 v[8:9], v[26:27], v[30:31], v[8:9] op_sel_hi:[1,0,1]
	;; [unrolled: 1-line block ×3, first 2 shown]
	s_waitcnt vmcnt(0)
	v_sub_u32_sdwa v11, v5, v56 dst_sel:DWORD dst_unused:UNUSED_PAD src0_sel:BYTE_0 src1_sel:DWORD
	v_pk_fma_f32 v[24:25], v[14:15], v[10:11], v[8:9] op_sel_hi:[1,0,1]
	v_sub_u32_sdwa v8, v4, v57 dst_sel:DWORD dst_unused:UNUSED_PAD src0_sel:BYTE_0 src1_sel:DWORD
	v_cvt_f32_i32_e32 v9, v11
	v_sub_u32_sdwa v10, v5, v56 dst_sel:DWORD dst_unused:UNUSED_PAD src0_sel:BYTE_1 src1_sel:DWORD
	v_sub_u32_sdwa v11, v4, v57 dst_sel:DWORD dst_unused:UNUSED_PAD src0_sel:BYTE_1 src1_sel:DWORD
	v_cvt_f32_i32_e32 v8, v8
	v_cvt_f32_i32_e32 v10, v10
	v_cvt_f32_i32_e32 v11, v11
	v_cvt_f16_f32_e32 v9, v9
	v_cvt_f16_f32_e32 v12, v8
	;; [unrolled: 1-line block ×4, first 2 shown]
	v_cvt_f32_f16_e32 v29, v9
	ds_read_b128 v[8:11], v58 offset:32
	v_cvt_f32_f16_e32 v28, v12
	v_cvt_f32_f16_e32 v31, v13
	;; [unrolled: 1-line block ×3, first 2 shown]
	ds_read_b128 v[12:15], v58 offset:48
	v_sub_u32_sdwa v33, v7, v54 dst_sel:DWORD dst_unused:UNUSED_PAD src0_sel:BYTE_0 src1_sel:DWORD
	v_sub_u32_sdwa v58, v6, v55 dst_sel:DWORD dst_unused:UNUSED_PAD src0_sel:BYTE_0 src1_sel:DWORD
	v_cvt_f32_i32_e32 v33, v33
	v_cvt_f32_i32_e32 v58, v58
	v_sub_u32_sdwa v59, v7, v54 dst_sel:DWORD dst_unused:UNUSED_PAD src0_sel:BYTE_1 src1_sel:DWORD
	v_sub_u32_sdwa v60, v6, v55 dst_sel:DWORD dst_unused:UNUSED_PAD src0_sel:BYTE_1 src1_sel:DWORD
	v_cvt_f32_i32_e32 v59, v59
	v_cvt_f32_i32_e32 v60, v60
	v_cvt_f16_f32_e32 v33, v33
	v_cvt_f16_f32_e32 v58, v58
	;; [unrolled: 1-line block ×4, first 2 shown]
	s_waitcnt lgkmcnt(1)
	v_cvt_f32_f16_e32 v32, v8
	v_cvt_f32_f16_sdwa v8, v8 dst_sel:DWORD dst_unused:UNUSED_PAD src0_sel:WORD_1
	v_cvt_f32_f16_e32 v59, v33
	v_cvt_f32_f16_e32 v58, v58
	;; [unrolled: 1-line block ×4, first 2 shown]
	v_pk_fma_f32 v[28:29], v[28:29], v[32:33], 0 op_sel_hi:[1,0,0]
	v_pk_fma_f32 v[28:29], v[30:31], v[8:9], v[28:29] op_sel_hi:[1,0,1]
	;; [unrolled: 1-line block ×4, first 2 shown]
	v_sub_u32_sdwa v8, v4, v57 dst_sel:DWORD dst_unused:UNUSED_PAD src0_sel:BYTE_2 src1_sel:DWORD
	v_sub_u32_sdwa v59, v4, v57 dst_sel:DWORD dst_unused:UNUSED_PAD src0_sel:BYTE_3 src1_sel:DWORD
	v_add_co_u32_e32 v4, vcc, s12, v46
	v_sub_u32_sdwa v32, v5, v56 dst_sel:DWORD dst_unused:UNUSED_PAD src0_sel:BYTE_2 src1_sel:DWORD
	v_sub_u32_sdwa v60, v5, v56 dst_sel:DWORD dst_unused:UNUSED_PAD src0_sel:BYTE_3 src1_sel:DWORD
	v_addc_co_u32_e32 v5, vcc, v53, v47, vcc
	v_sub_u32_sdwa v33, v7, v54 dst_sel:DWORD dst_unused:UNUSED_PAD src0_sel:BYTE_2 src1_sel:DWORD
	v_sub_u32_sdwa v58, v6, v55 dst_sel:DWORD dst_unused:UNUSED_PAD src0_sel:BYTE_2 src1_sel:DWORD
	v_sub_u32_sdwa v61, v6, v55 dst_sel:DWORD dst_unused:UNUSED_PAD src0_sel:BYTE_3 src1_sel:DWORD
	v_sub_u32_sdwa v62, v7, v54 dst_sel:DWORD dst_unused:UNUSED_PAD src0_sel:BYTE_3 src1_sel:DWORD
	global_load_dwordx4 v[4:7], v[4:5], off offset:-8
	v_cvt_f32_i32_e32 v8, v8
	v_cvt_f32_i32_e32 v32, v32
	;; [unrolled: 1-line block ×4, first 2 shown]
	v_cvt_f16_f32_e32 v8, v8
	v_cvt_f16_f32_e32 v63, v32
	v_cvt_f16_f32_e32 v58, v58
	v_cvt_f32_i32_e32 v59, v59
	v_cvt_f32_f16_e32 v32, v8
	v_cvt_f32_f16_e32 v33, v63
	;; [unrolled: 1-line block ×3, first 2 shown]
	v_cvt_f16_f32_e32 v63, v64
	v_pk_fma_f32 v[28:29], v[32:33], v[8:9], v[28:29] op_sel_hi:[1,0,1]
	v_cvt_f32_f16_e32 v32, v58
	v_cvt_f32_i32_e32 v58, v60
	v_cvt_f32_i32_e32 v60, v61
	;; [unrolled: 1-line block ×3, first 2 shown]
	v_cvt_f16_f32_e32 v62, v59
	v_cvt_f16_f32_e32 v58, v58
	;; [unrolled: 1-line block ×4, first 2 shown]
	v_cvt_f32_f16_e32 v33, v63
	v_cvt_f32_f16_e32 v59, v58
	;; [unrolled: 1-line block ×3, first 2 shown]
	v_cvt_f32_f16_sdwa v62, v9 dst_sel:DWORD dst_unused:UNUSED_PAD src0_sel:WORD_1
	v_cvt_f32_f16_e32 v60, v60
	v_cvt_f32_f16_e32 v61, v61
	v_pk_fma_f32 v[8:9], v[32:33], v[8:9], v[30:31] op_sel_hi:[1,0,1]
	v_pk_fma_f32 v[32:33], v[58:59], v[62:63], v[28:29] op_sel_hi:[1,0,1]
	v_add_co_u32_e32 v28, vcc, s12, v48
	v_addc_co_u32_e32 v29, vcc, v53, v49, vcc
	global_load_dwordx4 v[28:31], v[28:29], off offset:-8
	v_pk_fma_f32 v[8:9], v[60:61], v[62:63], v[8:9] op_sel_hi:[1,0,1]
	s_waitcnt vmcnt(1)
	v_sub_u32_sdwa v58, v5, v56 dst_sel:DWORD dst_unused:UNUSED_PAD src0_sel:BYTE_0 src1_sel:DWORD
	v_sub_u32_sdwa v59, v4, v57 dst_sel:DWORD dst_unused:UNUSED_PAD src0_sel:BYTE_0 src1_sel:DWORD
	;; [unrolled: 1-line block ×4, first 2 shown]
	v_cvt_f32_i32_e32 v58, v58
	v_cvt_f32_i32_e32 v59, v59
	;; [unrolled: 1-line block ×4, first 2 shown]
	v_cvt_f16_f32_e32 v58, v58
	v_cvt_f16_f32_e32 v62, v59
	;; [unrolled: 1-line block ×4, first 2 shown]
	v_cvt_f32_f16_e32 v59, v58
	v_cvt_f32_f16_e32 v58, v62
	;; [unrolled: 1-line block ×5, first 2 shown]
	v_cvt_f32_f16_sdwa v10, v10 dst_sel:DWORD dst_unused:UNUSED_PAD src0_sel:WORD_1
	v_sub_u32_sdwa v64, v6, v55 dst_sel:DWORD dst_unused:UNUSED_PAD src0_sel:BYTE_3 src1_sel:DWORD
	v_pk_fma_f32 v[32:33], v[58:59], v[62:63], v[32:33] op_sel_hi:[1,0,1]
	v_pk_fma_f32 v[8:9], v[60:61], v[62:63], v[8:9] op_sel_hi:[1,0,1]
	v_sub_u32_sdwa v58, v5, v56 dst_sel:DWORD dst_unused:UNUSED_PAD src0_sel:BYTE_1 src1_sel:DWORD
	v_sub_u32_sdwa v59, v4, v57 dst_sel:DWORD dst_unused:UNUSED_PAD src0_sel:BYTE_1 src1_sel:DWORD
	;; [unrolled: 1-line block ×4, first 2 shown]
	v_cvt_f32_i32_e32 v58, v58
	v_cvt_f32_i32_e32 v59, v59
	;; [unrolled: 1-line block ×4, first 2 shown]
	v_cvt_f16_f32_e32 v58, v58
	v_cvt_f16_f32_e32 v62, v59
	;; [unrolled: 1-line block ×4, first 2 shown]
	v_cvt_f32_f16_e32 v59, v58
	v_cvt_f32_f16_e32 v58, v62
	v_cvt_f32_f16_e32 v61, v60
	v_cvt_f32_f16_e32 v60, v63
	v_sub_u32_sdwa v62, v5, v56 dst_sel:DWORD dst_unused:UNUSED_PAD src0_sel:BYTE_3 src1_sel:DWORD
	v_pk_fma_f32 v[32:33], v[58:59], v[10:11], v[32:33] op_sel_hi:[1,0,1]
	v_sub_u32_sdwa v63, v4, v57 dst_sel:DWORD dst_unused:UNUSED_PAD src0_sel:BYTE_3 src1_sel:DWORD
	v_pk_fma_f32 v[58:59], v[60:61], v[10:11], v[8:9] op_sel_hi:[1,0,1]
	v_sub_u32_sdwa v8, v5, v56 dst_sel:DWORD dst_unused:UNUSED_PAD src0_sel:BYTE_2 src1_sel:DWORD
	v_sub_u32_sdwa v9, v4, v57 dst_sel:DWORD dst_unused:UNUSED_PAD src0_sel:BYTE_2 src1_sel:DWORD
	v_cvt_f32_i32_e32 v4, v8
	v_cvt_f32_i32_e32 v5, v9
	v_sub_u32_sdwa v61, v6, v55 dst_sel:DWORD dst_unused:UNUSED_PAD src0_sel:BYTE_2 src1_sel:DWORD
	v_add_co_u32_e32 v8, vcc, s12, v50
	v_cvt_f16_f32_e32 v4, v4
	v_cvt_f16_f32_e32 v6, v5
	v_sub_u32_sdwa v60, v7, v54 dst_sel:DWORD dst_unused:UNUSED_PAD src0_sel:BYTE_2 src1_sel:DWORD
	v_sub_u32_sdwa v7, v7, v54 dst_sel:DWORD dst_unused:UNUSED_PAD src0_sel:BYTE_3 src1_sel:DWORD
	v_cvt_f32_f16_e32 v5, v4
	v_cvt_f32_f16_e32 v4, v6
	;; [unrolled: 1-line block ×3, first 2 shown]
	v_addc_co_u32_e32 v9, vcc, v53, v51, vcc
	v_cvt_f32_i32_e32 v53, v61
	v_pk_fma_f32 v[4:5], v[4:5], v[6:7], v[32:33] op_sel_hi:[1,0,1]
	v_cvt_f32_f16_sdwa v32, v11 dst_sel:DWORD dst_unused:UNUSED_PAD src0_sel:WORD_1
	global_load_dwordx4 v[8:11], v[8:9], off offset:-8
	v_cvt_f32_i32_e32 v33, v60
	v_cvt_f16_f32_e32 v53, v53
	v_cvt_f32_i32_e32 v7, v7
	s_waitcnt vmcnt(1)
	v_sub_u32_sdwa v71, v28, v57 dst_sel:DWORD dst_unused:UNUSED_PAD src0_sel:BYTE_2 src1_sel:DWORD
	v_cvt_f16_f32_e32 v33, v33
	v_cvt_f32_f16_e32 v60, v53
	v_cvt_f32_i32_e32 v53, v63
	v_cvt_f16_f32_e32 v7, v7
	v_cvt_f32_f16_e32 v61, v33
	v_cvt_f32_i32_e32 v33, v62
	v_cvt_f32_i32_e32 v62, v64
	v_cvt_f16_f32_e32 v53, v53
	v_cvt_f32_f16_e32 v65, v7
	v_cvt_f16_f32_e32 v33, v33
	v_cvt_f16_f32_e32 v64, v62
	v_cvt_f32_f16_e32 v62, v53
	v_pk_fma_f32 v[58:59], v[60:61], v[6:7], v[58:59] op_sel_hi:[1,0,1]
	v_cvt_f32_f16_e32 v63, v33
	v_cvt_f32_f16_e32 v64, v64
	v_sub_u32_sdwa v72, v28, v57 dst_sel:DWORD dst_unused:UNUSED_PAD src0_sel:BYTE_3 src1_sel:DWORD
	v_sub_u32_sdwa v73, v30, v55 dst_sel:DWORD dst_unused:UNUSED_PAD src0_sel:BYTE_2 src1_sel:DWORD
	v_pk_fma_f32 v[6:7], v[62:63], v[32:33], v[4:5] op_sel_hi:[1,0,1]
	v_pk_fma_f32 v[4:5], v[64:65], v[32:33], v[58:59] op_sel_hi:[1,0,1]
	v_sub_u32_sdwa v74, v30, v55 dst_sel:DWORD dst_unused:UNUSED_PAD src0_sel:BYTE_3 src1_sel:DWORD
	v_sub_u32_sdwa v75, v31, v54 dst_sel:DWORD dst_unused:UNUSED_PAD src0_sel:BYTE_1 src1_sel:DWORD
	v_sub_u32_sdwa v76, v31, v54 dst_sel:DWORD dst_unused:UNUSED_PAD src0_sel:BYTE_2 src1_sel:DWORD
	s_add_u32 s12, s12, s2
	s_addc_u32 s13, s13, s3
	s_add_i32 s4, s4, 64
	s_cmp_lt_i32 s22, s23
	s_waitcnt vmcnt(0)
	v_sub_u32_sdwa v32, v9, v56 dst_sel:DWORD dst_unused:UNUSED_PAD src0_sel:BYTE_0 src1_sel:DWORD
	v_sub_u32_sdwa v33, v8, v57 dst_sel:DWORD dst_unused:UNUSED_PAD src0_sel:BYTE_0 src1_sel:DWORD
	v_sub_u32_sdwa v53, v9, v56 dst_sel:DWORD dst_unused:UNUSED_PAD src0_sel:BYTE_1 src1_sel:DWORD
	v_sub_u32_sdwa v58, v8, v57 dst_sel:DWORD dst_unused:UNUSED_PAD src0_sel:BYTE_1 src1_sel:DWORD
	v_sub_u32_sdwa v59, v9, v56 dst_sel:DWORD dst_unused:UNUSED_PAD src0_sel:BYTE_2 src1_sel:DWORD
	v_sub_u32_sdwa v60, v8, v57 dst_sel:DWORD dst_unused:UNUSED_PAD src0_sel:BYTE_2 src1_sel:DWORD
	v_sub_u32_sdwa v61, v9, v56 dst_sel:DWORD dst_unused:UNUSED_PAD src0_sel:BYTE_3 src1_sel:DWORD
	v_sub_u32_sdwa v62, v8, v57 dst_sel:DWORD dst_unused:UNUSED_PAD src0_sel:BYTE_3 src1_sel:DWORD
	v_sub_u32_sdwa v8, v28, v57 dst_sel:DWORD dst_unused:UNUSED_PAD src0_sel:BYTE_0 src1_sel:DWORD
	v_sub_u32_sdwa v9, v29, v56 dst_sel:DWORD dst_unused:UNUSED_PAD src0_sel:BYTE_0 src1_sel:DWORD
	v_sub_u32_sdwa v63, v10, v55 dst_sel:DWORD dst_unused:UNUSED_PAD src0_sel:BYTE_0 src1_sel:DWORD
	v_sub_u32_sdwa v64, v11, v54 dst_sel:DWORD dst_unused:UNUSED_PAD src0_sel:BYTE_0 src1_sel:DWORD
	v_sub_u32_sdwa v65, v11, v54 dst_sel:DWORD dst_unused:UNUSED_PAD src0_sel:BYTE_1 src1_sel:DWORD
	v_sub_u32_sdwa v66, v10, v55 dst_sel:DWORD dst_unused:UNUSED_PAD src0_sel:BYTE_1 src1_sel:DWORD
	v_sub_u32_sdwa v67, v11, v54 dst_sel:DWORD dst_unused:UNUSED_PAD src0_sel:BYTE_2 src1_sel:DWORD
	v_sub_u32_sdwa v68, v10, v55 dst_sel:DWORD dst_unused:UNUSED_PAD src0_sel:BYTE_2 src1_sel:DWORD
	v_sub_u32_sdwa v69, v11, v54 dst_sel:DWORD dst_unused:UNUSED_PAD src0_sel:BYTE_3 src1_sel:DWORD
	v_sub_u32_sdwa v70, v10, v55 dst_sel:DWORD dst_unused:UNUSED_PAD src0_sel:BYTE_3 src1_sel:DWORD
	v_sub_u32_sdwa v10, v28, v57 dst_sel:DWORD dst_unused:UNUSED_PAD src0_sel:BYTE_1 src1_sel:DWORD
	v_sub_u32_sdwa v11, v29, v56 dst_sel:DWORD dst_unused:UNUSED_PAD src0_sel:BYTE_1 src1_sel:DWORD
	v_cvt_f32_i32_e32 v9, v9
	v_cvt_f32_i32_e32 v8, v8
	v_cvt_f32_i32_e32 v10, v10
	v_cvt_f32_i32_e32 v11, v11
	v_cvt_f16_f32_e32 v9, v9
	v_cvt_f16_f32_e32 v8, v8
	;; [unrolled: 1-line block ×4, first 2 shown]
	v_cvt_f32_f16_e32 v9, v9
	v_cvt_f32_f16_e32 v8, v8
	s_waitcnt lgkmcnt(0)
	v_cvt_f32_f16_e32 v28, v12
	v_cvt_f32_f16_e32 v10, v10
	;; [unrolled: 1-line block ×3, first 2 shown]
	v_cvt_f32_f16_sdwa v12, v12 dst_sel:DWORD dst_unused:UNUSED_PAD src0_sel:WORD_1
	v_sub_u32_sdwa v57, v29, v56 dst_sel:DWORD dst_unused:UNUSED_PAD src0_sel:BYTE_2 src1_sel:DWORD
	v_sub_u32_sdwa v56, v29, v56 dst_sel:DWORD dst_unused:UNUSED_PAD src0_sel:BYTE_3 src1_sel:DWORD
	v_sub_u32_sdwa v29, v30, v55 dst_sel:DWORD dst_unused:UNUSED_PAD src0_sel:BYTE_0 src1_sel:DWORD
	v_sub_u32_sdwa v30, v30, v55 dst_sel:DWORD dst_unused:UNUSED_PAD src0_sel:BYTE_1 src1_sel:DWORD
	v_sub_u32_sdwa v55, v31, v54 dst_sel:DWORD dst_unused:UNUSED_PAD src0_sel:BYTE_0 src1_sel:DWORD
	v_pk_fma_f32 v[8:9], v[8:9], v[28:29], 0 op_sel_hi:[1,0,0]
	v_pk_fma_f32 v[8:9], v[10:11], v[12:13], v[8:9] op_sel_hi:[1,0,1]
	v_cvt_f32_i32_e32 v10, v55
	v_cvt_f32_i32_e32 v11, v29
	v_sub_u32_sdwa v31, v31, v54 dst_sel:DWORD dst_unused:UNUSED_PAD src0_sel:BYTE_3 src1_sel:DWORD
	v_cvt_f16_f32_e32 v10, v10
	v_cvt_f16_f32_e32 v29, v11
	v_cvt_f32_f16_e32 v11, v10
	v_cvt_f32_f16_e32 v10, v29
	v_pk_fma_f32 v[10:11], v[10:11], v[28:29], 0 op_sel_hi:[1,0,0]
	v_cvt_f32_i32_e32 v28, v75
	v_cvt_f32_i32_e32 v29, v30
	v_cvt_f16_f32_e32 v28, v28
	v_cvt_f16_f32_e32 v30, v29
	v_cvt_f32_f16_e32 v29, v28
	v_cvt_f32_f16_e32 v28, v30
	v_cvt_f32_f16_sdwa v30, v15 dst_sel:DWORD dst_unused:UNUSED_PAD src0_sel:WORD_1
	v_pk_fma_f32 v[10:11], v[28:29], v[12:13], v[10:11] op_sel_hi:[1,0,1]
	v_cvt_f32_i32_e32 v12, v57
	v_cvt_f32_i32_e32 v28, v71
	v_cvt_f32_f16_sdwa v57, v22 dst_sel:DWORD dst_unused:UNUSED_PAD src0_sel:WORD_1
	v_cvt_f16_f32_e32 v12, v12
	v_cvt_f16_f32_e32 v28, v28
	v_cvt_f32_f16_e32 v29, v12
	v_cvt_f32_f16_e32 v28, v28
	;; [unrolled: 1-line block ×3, first 2 shown]
	v_pk_fma_f32 v[8:9], v[28:29], v[12:13], v[8:9] op_sel_hi:[1,0,1]
	v_cvt_f32_i32_e32 v28, v73
	v_cvt_f32_i32_e32 v29, v76
	v_cvt_f16_f32_e32 v28, v28
	v_cvt_f16_f32_e32 v29, v29
	v_cvt_f32_f16_e32 v28, v28
	v_cvt_f32_f16_e32 v29, v29
	v_pk_fma_f32 v[10:11], v[28:29], v[12:13], v[10:11] op_sel_hi:[1,0,1]
	v_cvt_f32_i32_e32 v12, v56
	v_cvt_f32_i32_e32 v28, v72
	v_cvt_f32_f16_e32 v56, v22
	v_cvt_f16_f32_e32 v12, v12
	v_cvt_f16_f32_e32 v28, v28
	v_pk_mul_f32 v[18:19], v[18:19], v[56:57]
	v_pk_mul_f32 v[26:27], v[26:27], v[56:57]
	v_cvt_f32_f16_e32 v29, v12
	v_cvt_f32_f16_e32 v28, v28
	v_cvt_f32_f16_sdwa v12, v13 dst_sel:DWORD dst_unused:UNUSED_PAD src0_sel:WORD_1
	v_pk_mul_f32 v[6:7], v[6:7], v[56:57]
	v_pk_fma_f32 v[8:9], v[28:29], v[12:13], v[8:9] op_sel_hi:[1,0,1]
	v_cvt_f32_i32_e32 v13, v31
	v_cvt_f32_i32_e32 v28, v74
	;; [unrolled: 1-line block ×3, first 2 shown]
	v_cvt_f16_f32_e32 v13, v13
	v_cvt_f16_f32_e32 v28, v28
	v_cvt_f16_f32_e32 v31, v31
	v_cvt_f32_f16_e32 v29, v13
	v_cvt_f32_f16_e32 v28, v28
	v_cvt_f32_f16_e32 v54, v31
	v_pk_fma_f32 v[10:11], v[28:29], v[12:13], v[10:11] op_sel_hi:[1,0,1]
	v_cvt_f32_f16_e32 v28, v15
	v_cvt_f32_i32_e32 v13, v32
	v_cvt_f32_i32_e32 v15, v33
	v_cvt_f32_f16_e32 v12, v14
	v_cvt_f32_f16_sdwa v14, v14 dst_sel:DWORD dst_unused:UNUSED_PAD src0_sel:WORD_1
	v_cvt_f16_f32_e32 v13, v13
	v_cvt_f16_f32_e32 v15, v15
	v_cvt_f32_i32_e32 v29, v61
	v_cvt_f32_f16_e32 v33, v13
	v_cvt_f32_f16_e32 v32, v15
	v_cvt_f32_i32_e32 v15, v58
	v_cvt_f16_f32_e32 v29, v29
	v_pk_fma_f32 v[8:9], v[32:33], v[12:13], v[8:9] op_sel_hi:[1,0,1]
	v_cvt_f32_i32_e32 v13, v53
	v_cvt_f16_f32_e32 v15, v15
	v_cvt_f32_f16_e32 v55, v29
	v_cvt_f16_f32_e32 v13, v13
	v_cvt_f32_f16_e32 v32, v15
	v_cvt_f32_f16_e32 v33, v13
	v_cvt_f32_i32_e32 v13, v59
	v_pk_fma_f32 v[8:9], v[32:33], v[14:15], v[8:9] op_sel_hi:[1,0,1]
	v_cvt_f32_i32_e32 v15, v60
	v_cvt_f16_f32_e32 v13, v13
	v_cvt_f16_f32_e32 v15, v15
	v_cvt_f32_f16_e32 v33, v13
	v_cvt_f16_f32_e32 v13, v19
	v_cvt_f16_f32_e32 v19, v26
	v_cvt_f32_f16_e32 v32, v15
	v_cvt_f16_f32_e32 v15, v18
	v_cvt_f16_f32_e32 v18, v27
	v_pk_fma_f32 v[8:9], v[32:33], v[28:29], v[8:9] op_sel_hi:[1,0,1]
	v_pk_fma_f32 v[8:9], v[54:55], v[30:31], v[8:9] op_sel_hi:[1,0,1]
	v_pk_mul_f32 v[8:9], v[8:9], v[56:57]
	v_pack_b32_f16 v13, v15, v13
	v_pack_b32_f16 v15, v19, v18
	v_cvt_f16_f32_e32 v18, v7
	v_cvt_f16_f32_e32 v19, v6
	;; [unrolled: 1-line block ×4, first 2 shown]
	v_cvt_f32_f16_sdwa v7, v23 dst_sel:DWORD dst_unused:UNUSED_PAD src0_sel:WORD_1
	v_cvt_f32_f16_e32 v6, v23
	v_pk_add_f16 v13, v42, v13
	v_pk_add_f16 v13, v13, v15
	v_pack_b32_f16 v15, v19, v18
	v_pk_add_f16 v13, v13, v15
	v_pack_b32_f16 v15, v8, v9
	v_pk_mul_f32 v[8:9], v[16:17], v[6:7]
	v_cvt_f16_f32_e32 v16, v9
	v_cvt_f16_f32_e32 v17, v8
	v_pk_mul_f32 v[8:9], v[24:25], v[6:7]
	v_cvt_f16_f32_e32 v9, v9
	v_cvt_f16_f32_e32 v8, v8
	v_pk_mul_f32 v[4:5], v[4:5], v[6:7]
	v_pk_add_f16 v42, v13, v15
	v_cvt_f16_f32_e32 v24, v5
	v_pack_b32_f16 v15, v8, v9
	v_cvt_f16_f32_e32 v25, v4
	v_cvt_f32_i32_e32 v4, v64
	v_cvt_f32_i32_e32 v5, v63
	;; [unrolled: 1-line block ×4, first 2 shown]
	v_pack_b32_f16 v13, v17, v16
	v_cvt_f16_f32_e32 v4, v4
	v_cvt_f16_f32_e32 v16, v5
	;; [unrolled: 1-line block ×4, first 2 shown]
	v_cvt_f32_f16_e32 v5, v4
	v_cvt_f32_f16_e32 v4, v16
	;; [unrolled: 1-line block ×4, first 2 shown]
	v_cvt_f32_i32_e32 v16, v67
	v_cvt_f32_i32_e32 v17, v68
	;; [unrolled: 1-line block ×4, first 2 shown]
	v_cvt_f16_f32_e32 v16, v16
	v_cvt_f16_f32_e32 v26, v17
	v_cvt_f16_f32_e32 v18, v18
	v_cvt_f16_f32_e32 v27, v19
	v_cvt_f32_f16_e32 v17, v16
	v_cvt_f32_f16_e32 v16, v26
	v_pk_add_f16 v13, v52, v13
	v_cvt_f32_f16_e32 v19, v18
	v_cvt_f32_f16_e32 v18, v27
	v_pk_fma_f32 v[4:5], v[4:5], v[12:13], v[10:11] op_sel_hi:[1,0,1]
	v_pk_fma_f32 v[4:5], v[8:9], v[14:15], v[4:5] op_sel_hi:[1,0,1]
	;; [unrolled: 1-line block ×4, first 2 shown]
	v_pk_mul_f32 v[4:5], v[4:5], v[6:7]
	v_cvt_f16_f32_e32 v5, v5
	v_cvt_f16_f32_e32 v4, v4
	v_pk_add_f16 v6, v13, v15
	v_pack_b32_f16 v7, v25, v24
	v_pk_add_f16 v6, v6, v7
	v_pack_b32_f16 v4, v4, v5
	v_pk_add_f16 v52, v6, v4
	s_cbranch_scc0 .LBB18_10
.LBB18_8:                               ; =>This Inner Loop Header: Depth=1
	s_cmp_lg_u32 s22, s8
	s_cbranch_scc1 .LBB18_7
; %bb.9:                                ;   in Loop: Header=BB18_8 Depth=1
	s_add_i32 s6, s6, 1
	s_mul_i32 s1, s6, s0
	s_ashr_i32 s9, s1, 31
	s_lshr_b32 s9, s9, 30
	s_add_i32 s9, s1, s9
	s_ashr_i32 s9, s9, 2
	v_add_u32_e32 v0, s9, v34
	v_ashrrev_i32_e32 v1, 31, v0
	v_lshlrev_b64 v[0:1], 2, v[0:1]
	v_mov_b32_e32 v2, s15
	v_add_co_u32_e32 v0, vcc, s14, v0
	v_addc_co_u32_e32 v1, vcc, v2, v1, vcc
	global_load_dword v3, v[0:1], off
	v_add_u32_e32 v0, s1, v20
	v_ashrrev_i32_e32 v1, 31, v0
	v_lshlrev_b64 v[0:1], 1, v[0:1]
	v_mov_b32_e32 v2, s17
	v_add_co_u32_e32 v0, vcc, s16, v0
	v_addc_co_u32_e32 v1, vcc, v2, v1, vcc
	global_load_dwordx2 v[22:23], v[0:1], off
	s_add_i32 s8, s8, s5
	s_waitcnt vmcnt(1)
	v_and_b32_e32 v0, 0xff, v3
	v_bfe_u32 v1, v3, 8, 8
	v_bfe_u32 v2, v3, 16, 8
	v_lshrrev_b32_e32 v3, 24, v3
	s_branch .LBB18_7
.LBB18_10:
	s_mul_i32 s7, s7, s0
	v_add_u32_e32 v0, s7, v20
	v_ashrrev_i32_e32 v1, 31, v0
	v_lshlrev_b64 v[0:1], 1, v[0:1]
	v_mov_b32_e32 v2, s19
	v_add_co_u32_e32 v0, vcc, s18, v0
	v_addc_co_u32_e32 v1, vcc, v2, v1, vcc
	global_load_dword v3, v[0:1], off
	s_mov_b64 s[0:1], 0
.LBB18_11:                              ; =>This Inner Loop Header: Depth=1
	s_waitcnt vmcnt(0)
	v_pk_add_f16 v2, v42, v3
	global_atomic_cmpswap v2, v[0:1], v[2:3], off glc
	s_waitcnt vmcnt(0)
	v_cmp_eq_u32_e32 vcc, v3, v2
	s_or_b64 s[0:1], vcc, s[0:1]
	v_mov_b32_e32 v3, v2
	s_andn2_b64 exec, exec, s[0:1]
	s_cbranch_execnz .LBB18_11
; %bb.12:
	s_or_b64 exec, exec, s[0:1]
	global_load_dword v3, v[0:1], off offset:4
	s_mov_b64 s[0:1], 0
.LBB18_13:                              ; =>This Inner Loop Header: Depth=1
	s_waitcnt vmcnt(0)
	v_pk_add_f16 v2, v52, v3
	global_atomic_cmpswap v2, v[0:1], v[2:3], off offset:4 glc
	s_waitcnt vmcnt(0)
	v_cmp_eq_u32_e32 vcc, v3, v2
	s_or_b64 s[0:1], vcc, s[0:1]
	v_mov_b32_e32 v3, v2
	s_andn2_b64 exec, exec, s[0:1]
	s_cbranch_execnz .LBB18_13
.LBB18_14:
	s_endpgm
	.section	.rodata,"a",@progbits
	.p2align	6, 0x0
	.amdhsa_kernel _ZN4vllm4gptq33gemm_half_q_half_gptq_8bit_kernelILb1ELi1EEEvPK6__halfPKjS6_S4_PS2_iiiibPKi
		.amdhsa_group_segment_fixed_size 256
		.amdhsa_private_segment_fixed_size 0
		.amdhsa_kernarg_size 72
		.amdhsa_user_sgpr_count 6
		.amdhsa_user_sgpr_private_segment_buffer 1
		.amdhsa_user_sgpr_dispatch_ptr 0
		.amdhsa_user_sgpr_queue_ptr 0
		.amdhsa_user_sgpr_kernarg_segment_ptr 1
		.amdhsa_user_sgpr_dispatch_id 0
		.amdhsa_user_sgpr_flat_scratch_init 0
		.amdhsa_user_sgpr_kernarg_preload_length 0
		.amdhsa_user_sgpr_kernarg_preload_offset 0
		.amdhsa_user_sgpr_private_segment_size 0
		.amdhsa_uses_dynamic_stack 0
		.amdhsa_system_sgpr_private_segment_wavefront_offset 0
		.amdhsa_system_sgpr_workgroup_id_x 1
		.amdhsa_system_sgpr_workgroup_id_y 1
		.amdhsa_system_sgpr_workgroup_id_z 1
		.amdhsa_system_sgpr_workgroup_info 0
		.amdhsa_system_vgpr_workitem_id 0
		.amdhsa_next_free_vgpr 77
		.amdhsa_next_free_sgpr 26
		.amdhsa_accum_offset 80
		.amdhsa_reserve_vcc 1
		.amdhsa_reserve_flat_scratch 0
		.amdhsa_float_round_mode_32 0
		.amdhsa_float_round_mode_16_64 0
		.amdhsa_float_denorm_mode_32 3
		.amdhsa_float_denorm_mode_16_64 3
		.amdhsa_dx10_clamp 1
		.amdhsa_ieee_mode 1
		.amdhsa_fp16_overflow 0
		.amdhsa_tg_split 0
		.amdhsa_exception_fp_ieee_invalid_op 0
		.amdhsa_exception_fp_denorm_src 0
		.amdhsa_exception_fp_ieee_div_zero 0
		.amdhsa_exception_fp_ieee_overflow 0
		.amdhsa_exception_fp_ieee_underflow 0
		.amdhsa_exception_fp_ieee_inexact 0
		.amdhsa_exception_int_div_zero 0
	.end_amdhsa_kernel
	.section	.text._ZN4vllm4gptq33gemm_half_q_half_gptq_8bit_kernelILb1ELi1EEEvPK6__halfPKjS6_S4_PS2_iiiibPKi,"axG",@progbits,_ZN4vllm4gptq33gemm_half_q_half_gptq_8bit_kernelILb1ELi1EEEvPK6__halfPKjS6_S4_PS2_iiiibPKi,comdat
.Lfunc_end18:
	.size	_ZN4vllm4gptq33gemm_half_q_half_gptq_8bit_kernelILb1ELi1EEEvPK6__halfPKjS6_S4_PS2_iiiibPKi, .Lfunc_end18-_ZN4vllm4gptq33gemm_half_q_half_gptq_8bit_kernelILb1ELi1EEEvPK6__halfPKjS6_S4_PS2_iiiibPKi
                                        ; -- End function
	.section	.AMDGPU.csdata,"",@progbits
; Kernel info:
; codeLenInByte = 4928
; NumSgprs: 30
; NumVgprs: 77
; NumAgprs: 0
; TotalNumVgprs: 77
; ScratchSize: 0
; MemoryBound: 0
; FloatMode: 240
; IeeeMode: 1
; LDSByteSize: 256 bytes/workgroup (compile time only)
; SGPRBlocks: 3
; VGPRBlocks: 9
; NumSGPRsForWavesPerEU: 30
; NumVGPRsForWavesPerEU: 77
; AccumOffset: 80
; Occupancy: 6
; WaveLimiterHint : 0
; COMPUTE_PGM_RSRC2:SCRATCH_EN: 0
; COMPUTE_PGM_RSRC2:USER_SGPR: 6
; COMPUTE_PGM_RSRC2:TRAP_HANDLER: 0
; COMPUTE_PGM_RSRC2:TGID_X_EN: 1
; COMPUTE_PGM_RSRC2:TGID_Y_EN: 1
; COMPUTE_PGM_RSRC2:TGID_Z_EN: 1
; COMPUTE_PGM_RSRC2:TIDIG_COMP_CNT: 0
; COMPUTE_PGM_RSRC3_GFX90A:ACCUM_OFFSET: 19
; COMPUTE_PGM_RSRC3_GFX90A:TG_SPLIT: 0
	.section	.text._ZN4vllm4gptq33gemm_half_q_half_gptq_2bit_kernelILb1ELi2EEEvPK6__halfPKjS6_S4_PS2_iiiibPKi,"axG",@progbits,_ZN4vllm4gptq33gemm_half_q_half_gptq_2bit_kernelILb1ELi2EEEvPK6__halfPKjS6_S4_PS2_iiiibPKi,comdat
	.protected	_ZN4vllm4gptq33gemm_half_q_half_gptq_2bit_kernelILb1ELi2EEEvPK6__halfPKjS6_S4_PS2_iiiibPKi ; -- Begin function _ZN4vllm4gptq33gemm_half_q_half_gptq_2bit_kernelILb1ELi2EEEvPK6__halfPKjS6_S4_PS2_iiiibPKi
	.globl	_ZN4vllm4gptq33gemm_half_q_half_gptq_2bit_kernelILb1ELi2EEEvPK6__halfPKjS6_S4_PS2_iiiibPKi
	.p2align	8
	.type	_ZN4vllm4gptq33gemm_half_q_half_gptq_2bit_kernelILb1ELi2EEEvPK6__halfPKjS6_S4_PS2_iiiibPKi,@function
_ZN4vllm4gptq33gemm_half_q_half_gptq_2bit_kernelILb1ELi2EEEvPK6__halfPKjS6_S4_PS2_iiiibPKi: ; @_ZN4vllm4gptq33gemm_half_q_half_gptq_2bit_kernelILb1ELi2EEEvPK6__halfPKjS6_S4_PS2_iiiibPKi
; %bb.0:
	s_load_dwordx8 s[12:19], s[4:5], 0x8
	s_load_dwordx4 s[0:3], s[4:5], 0x2c
	s_lshl_b32 s22, s8, 7
	s_add_i32 s8, s22, 0x80
	v_cvt_f64_u32_e32 v[2:3], s8
	s_lshl_b32 s7, s7, 1
	s_waitcnt lgkmcnt(0)
	v_cvt_f64_i32_e32 v[4:5], s1
	v_min_f64 v[2:3], v[2:3], v[4:5]
	v_cvt_i32_f64_e32 v1, v[2:3]
	v_add_u32_e32 v2, s22, v0
	v_readfirstlane_b32 s23, v1
	v_cmp_lt_u32_e32 vcc, v2, v1
	s_and_saveexec_b64 s[8:9], vcc
	s_cbranch_execz .LBB19_6
; %bb.1:
	s_load_dwordx2 s[20:21], s[4:5], 0x40
	s_load_dwordx2 s[10:11], s[4:5], 0x0
	v_mov_b32_e32 v3, 0
	v_lshlrev_b64 v[4:5], 2, v[2:3]
	v_pk_mov_b32 v[6:7], v[2:3], v[2:3] op_sel:[0,1]
	s_waitcnt lgkmcnt(0)
	s_cmp_lg_u64 s[20:21], 0
	v_mov_b32_e32 v1, s21
	v_add_co_u32_e32 v4, vcc, s20, v4
	s_cselect_b64 s[4:5], -1, 0
	s_cmp_eq_u64 s[20:21], 0
	v_addc_co_u32_e32 v5, vcc, v1, v5, vcc
	s_cbranch_scc1 .LBB19_3
; %bb.2:
	global_load_dword v6, v[4:5], off
	s_waitcnt vmcnt(0)
	v_ashrrev_i32_e32 v7, 31, v6
.LBB19_3:
	s_mul_i32 s20, s7, s1
	s_ashr_i32 s21, s20, 31
	s_lshl_b64 s[24:25], s[20:21], 1
	s_add_u32 s21, s10, s24
	s_addc_u32 s24, s11, s25
	v_lshlrev_b64 v[6:7], 1, v[6:7]
	v_mov_b32_e32 v1, s24
	v_add_co_u32_e32 v6, vcc, s21, v6
	v_addc_co_u32_e32 v7, vcc, v1, v7, vcc
	global_load_ushort v6, v[6:7], off
	v_lshlrev_b32_e32 v1, 1, v0
	s_andn2_b64 vcc, exec, s[4:5]
	s_waitcnt vmcnt(0)
	ds_write_b16 v1, v6
	s_cbranch_vccnz .LBB19_5
; %bb.4:
	global_load_dword v2, v[4:5], off
	s_waitcnt vmcnt(0)
	v_ashrrev_i32_e32 v3, 31, v2
.LBB19_5:
	s_add_i32 s4, s20, s1
	s_ashr_i32 s5, s4, 31
	s_lshl_b64 s[4:5], s[4:5], 1
	s_add_u32 s4, s10, s4
	s_addc_u32 s5, s11, s5
	v_lshlrev_b64 v[2:3], 1, v[2:3]
	v_mov_b32_e32 v4, s5
	v_add_co_u32_e32 v2, vcc, s4, v2
	v_addc_co_u32_e32 v3, vcc, v4, v3, vcc
	global_load_ushort v2, v[2:3], off
	s_waitcnt vmcnt(0)
	ds_write_b16 v1, v2 offset:256
.LBB19_6:
	s_or_b64 exec, exec, s[8:9]
	v_lshlrev_b32_e32 v1, 2, v0
	v_lshl_add_u32 v4, s6, 9, v1
	v_cmp_gt_i32_e32 vcc, s0, v4
	s_and_saveexec_b64 s[4:5], vcc
	s_cbranch_execz .LBB19_20
; %bb.7:
	s_abs_i32 s5, s2
	v_cvt_f32_u32_e32 v1, s5
	s_mov_b32 s4, 0
	v_mov_b32_e32 v16, 0
	v_mov_b32_e32 v13, 0
	v_rcp_iflag_f32_e32 v1, v1
	v_mov_b32_e32 v11, 0
	s_cmp_ge_i32 s22, s23
	v_mov_b32_e32 v10, 0
	v_mul_f32_e32 v1, 0x4f7ffffe, v1
	v_cvt_u32_f32_e32 v1, v1
	s_waitcnt lgkmcnt(0)
	s_barrier
	v_readfirstlane_b32 s6, v1
	s_cbranch_scc1 .LBB19_12
; %bb.8:
	s_sub_i32 s9, 0, s5
	s_mul_i32 s9, s9, s6
	s_mul_hi_u32 s9, s6, s9
	s_ashr_i32 s8, s1, 31
	s_abs_i32 s1, s1
	s_add_i32 s6, s6, s9
	s_ashr_i32 s2, s2, 31
	s_mul_hi_u32 s6, s1, s6
	s_xor_b32 s2, s8, s2
	s_mul_i32 s8, s6, s5
	s_sub_i32 s1, s1, s8
	s_add_i32 s8, s6, 1
	s_sub_i32 s9, s1, s5
	s_cmp_ge_u32 s1, s5
	s_cselect_b32 s6, s8, s6
	s_cselect_b32 s1, s9, s1
	s_add_i32 s8, s6, 1
	s_cmp_ge_u32 s1, s5
	s_cselect_b32 s1, s8, s6
	s_xor_b32 s1, s1, s2
	s_sub_i32 s5, s1, s2
	v_cvt_f32_u32_e32 v1, s5
	s_bitcmp1_b32 s3, 0
	s_cselect_b64 s[2:3], -1, 0
	s_sub_i32 s1, 0, s5
	v_rcp_iflag_f32_e32 v1, v1
	s_xor_b64 s[2:3], s[2:3], -1
	v_ashrrev_i32_e32 v5, 31, v4
	v_lshrrev_b32_e32 v2, 28, v5
	v_mul_f32_e32 v1, 0x4f7ffffe, v1
	v_cvt_u32_f32_e32 v1, v1
	v_add_u32_e32 v2, v4, v2
	v_ashrrev_i32_e32 v12, 4, v2
	v_mov_b32_e32 v14, s15
	v_readfirstlane_b32 s6, v1
	s_mul_i32 s1, s1, s6
	s_mul_hi_u32 s1, s6, s1
	s_add_i32 s6, s6, s1
	s_mul_hi_u32 s1, s22, s6
	s_mul_i32 s6, s1, s5
	s_sub_i32 s6, s22, s6
	s_add_i32 s8, s1, 1
	s_sub_i32 s9, s6, s5
	s_cmp_ge_u32 s6, s5
	s_cselect_b32 s1, s8, s1
	s_cselect_b32 s6, s9, s6
	s_add_i32 s8, s1, 1
	s_cmp_ge_u32 s6, s5
	s_cselect_b32 s6, s8, s1
	s_mul_i32 s1, s6, s0
	s_ashr_i32 s8, s1, 31
	s_lshr_b32 s8, s8, 28
	v_add_u32_e32 v2, s1, v4
	s_add_i32 s1, s1, s8
	s_ashr_i32 s1, s1, 4
	v_add_u32_e32 v6, s1, v12
	v_ashrrev_i32_e32 v7, 31, v6
	v_lshlrev_b64 v[6:7], 2, v[6:7]
	v_ashrrev_i32_e32 v3, 31, v2
	v_add_co_u32_e32 v6, vcc, s14, v6
	v_lshlrev_b64 v[2:3], 1, v[2:3]
	v_addc_co_u32_e32 v7, vcc, v14, v7, vcc
	global_load_dword v16, v[6:7], off
	v_mov_b32_e32 v15, s17
	v_add_co_u32_e32 v2, vcc, s16, v2
	v_addc_co_u32_e32 v3, vcc, v15, v3, vcc
	global_load_dwordx2 v[6:7], v[2:3], off
	v_lshlrev_b32_e32 v2, 3, v0
	v_lshlrev_b64 v[0:1], 2, v[4:5]
	v_cndmask_b32_e64 v5, 0, 1, s[2:3]
	s_lshr_b32 s2, s22, 4
	s_mul_i32 s2, s2, s0
	s_ashr_i32 s3, s2, 31
	s_add_i32 s15, s5, s22
	s_ashr_i32 s1, s0, 31
	s_lshl_b64 s[2:3], s[2:3], 2
	s_add_u32 s12, s12, s2
	s_addc_u32 s13, s13, s3
	v_mov_b32_e32 v3, s13
	v_add_co_u32_e32 v0, vcc, s12, v0
	v_addc_co_u32_e32 v1, vcc, v3, v1, vcc
	v_and_b32_e32 v17, 24, v2
	v_add_co_u32_e32 v8, vcc, 8, v0
	v_mov_b32_e32 v10, 0
	s_movk_i32 s8, 0x3400
	s_movk_i32 s9, 0x2c00
	;; [unrolled: 1-line block ×3, first 2 shown]
	s_mov_b32 s11, 0x7060302
	v_mov_b32_e32 v11, 0
	v_mov_b32_e32 v13, 0
	s_lshl_b64 s[2:3], s[0:1], 2
	v_addc_co_u32_e32 v9, vcc, 0, v1, vcc
	s_waitcnt vmcnt(1)
	v_lshrrev_b32_e32 v0, v2, v16
	v_bfe_u32 v18, v16, v17, 2
	v_bfe_u32 v19, v0, 2, 2
	v_bfe_u32 v20, v0, 4, 2
	v_bfe_u32 v21, v0, 6, 2
	v_mov_b32_e32 v16, 0
	s_branch .LBB19_10
.LBB19_9:                               ;   in Loop: Header=BB19_10 Depth=1
	global_load_dwordx4 v[0:3], v[8:9], off offset:-8
	v_add_u32_e32 v22, v18, v5
	v_add_u32_e32 v23, v19, v5
	v_or_b32_e32 v26, 0xffffe400, v22
	v_cvt_f32_i32_e32 v22, v22
	v_or_b32_e32 v27, 0xffffe400, v23
	v_cvt_f32_i32_e32 v23, v23
	v_add_u32_e32 v24, v20, v5
	v_or_b32_e32 v28, 0xffffe400, v24
	v_cvt_f32_i32_e32 v24, v24
	v_cvt_f16_f32_e32 v22, v22
	v_cvt_f16_f32_e32 v23, v23
	v_add_u32_e32 v25, v21, v5
	v_or_b32_e32 v29, 0xffffe400, v25
	v_cvt_f32_i32_e32 v25, v25
	v_cvt_f16_f32_e32 v24, v24
	v_sub_f16_e32 v30, 0xdc00, v22
	v_sub_f16_e32 v32, 0xdc00, v23
	;; [unrolled: 1-line block ×6, first 2 shown]
	v_cvt_f16_f32_e32 v25, v25
	v_sub_f16_e32 v34, 0xdc00, v24
	v_sub_f16_e32 v35, 0xd400, v24
	;; [unrolled: 1-line block ×6, first 2 shown]
	s_add_i32 s22, s22, 16
	v_add_co_u32_e32 v8, vcc, s2, v8
	s_waitcnt vmcnt(0)
	v_and_b32_e32 v38, 0x30003, v0
	v_and_b32_e32 v39, 0xc000c, v0
	;; [unrolled: 1-line block ×4, first 2 shown]
	v_lshrrev_b32_e32 v0, 8, v0
	v_and_b32_e32 v42, 0x30003, v1
	v_and_b32_e32 v43, 0xc000c, v1
	;; [unrolled: 1-line block ×4, first 2 shown]
	v_lshrrev_b32_e32 v1, 8, v1
	v_and_b32_e32 v50, 0xc000c, v0
	v_and_b32_e32 v52, 0x30003, v1
	;; [unrolled: 1-line block ×5, first 2 shown]
	v_or_b32_e32 v39, 0x64006400, v39
	v_and_b32_e32 v49, 0x30003, v0
	v_and_b32_e32 v51, 0x300030, v0
	v_and_b32_e32 v0, 0xc000c0, v0
	v_or_b32_e32 v50, 0x64006400, v50
	v_or_b32_e32 v1, 0x64006400, v1
	v_and_b32_e32 v46, 0x30003, v2
	v_and_b32_e32 v47, 0xc000c, v2
	;; [unrolled: 1-line block ×3, first 2 shown]
	v_or_b32_e32 v38, 0x64006400, v38
	v_or_b32_e32 v41, 0x64006400, v41
	;; [unrolled: 1-line block ×5, first 2 shown]
	v_pk_fma_f16 v39, v39, s8, v30 op_sel_hi:[1,0,0]
	v_pk_fma_f16 v30, v50, s8, v30 op_sel_hi:[1,0,0]
	;; [unrolled: 1-line block ×3, first 2 shown]
	v_and_b32_e32 v1, 0xc000c0, v2
	v_lshrrev_b32_e32 v2, 8, v2
	v_pk_add_f16 v38, v26, v38 op_sel_hi:[0,1]
	v_pk_fma_f16 v41, v41, s10, v22 op_sel_hi:[1,0,0]
	v_pk_fma_f16 v45, v45, s10, v23 op_sel_hi:[1,0,0]
	v_pk_add_f16 v26, v26, v49 op_sel_hi:[0,1]
	v_pk_fma_f16 v49, v0, s10, v22 op_sel_hi:[1,0,0]
	v_or_b32_e32 v0, 0x64006400, v48
	v_and_b32_e32 v22, 0x30003, v2
	v_and_b32_e32 v23, 0xc000c, v2
	;; [unrolled: 1-line block ×4, first 2 shown]
	v_or_b32_e32 v40, 0x64006400, v40
	v_or_b32_e32 v42, 0x64006400, v42
	;; [unrolled: 1-line block ×10, first 2 shown]
	v_pk_fma_f16 v40, v40, s9, v31 op_sel_hi:[1,0,0]
	v_or_b32_e32 v53, 0x64006400, v53
	v_pk_add_f16 v42, v27, v42 op_sel_hi:[0,1]
	v_pk_fma_f16 v31, v51, s9, v31 op_sel_hi:[1,0,0]
	v_pk_add_f16 v27, v27, v52 op_sel_hi:[0,1]
	v_pk_add_f16 v46, v28, v46 op_sel_hi:[0,1]
	v_pk_fma_f16 v51, v0, s9, v35 op_sel_hi:[1,0,0]
	v_pk_fma_f16 v52, v1, s10, v24 op_sel_hi:[1,0,0]
	v_pk_add_f16 v28, v28, v22 op_sel_hi:[0,1]
	v_pk_fma_f16 v35, v48, s9, v35 op_sel_hi:[1,0,0]
	v_pk_fma_f16 v48, v2, s10, v24 op_sel_hi:[1,0,0]
	v_and_b32_e32 v0, 0x30003, v3
	v_and_b32_e32 v1, 0xc000c, v3
	;; [unrolled: 1-line block ×4, first 2 shown]
	v_lshrrev_b32_e32 v3, 8, v3
	v_pk_fma_f16 v43, v43, s8, v32 op_sel_hi:[1,0,0]
	v_pk_fma_f16 v32, v53, s8, v32 op_sel_hi:[1,0,0]
	v_and_b32_e32 v53, 0x300030, v3
	v_or_b32_e32 v2, 0x64006400, v2
	v_or_b32_e32 v53, 0x64006400, v53
	;; [unrolled: 1-line block ×6, first 2 shown]
	v_pk_fma_f16 v56, v2, s9, v37 op_sel_hi:[1,0,0]
	v_pk_fma_f16 v37, v53, s9, v37 op_sel_hi:[1,0,0]
	v_mov_b32_e32 v53, s4
	v_pk_fma_f16 v44, v44, s9, v33 op_sel_hi:[1,0,0]
	v_pk_fma_f16 v33, v54, s9, v33 op_sel_hi:[1,0,0]
	v_pk_add_f16 v54, v29, v0 op_sel_hi:[0,1]
	v_pk_fma_f16 v55, v1, s8, v36 op_sel_hi:[1,0,0]
	ds_read2_b32 v[0:1], v53 offset1:1
	v_or_b32_e32 v47, 0x64006400, v47
	v_or_b32_e32 v23, 0x64006400, v23
	v_pk_fma_f16 v47, v47, s8, v34 op_sel_hi:[1,0,0]
	v_pk_fma_f16 v34, v23, s8, v34 op_sel_hi:[1,0,0]
	v_and_b32_e32 v23, 0x30003, v3
	v_and_b32_e32 v24, 0xc000c, v3
	;; [unrolled: 1-line block ×3, first 2 shown]
	v_or_b32_e32 v22, 0x64006400, v22
	v_or_b32_e32 v23, 0x64006400, v23
	;; [unrolled: 1-line block ×4, first 2 shown]
	v_pk_fma_f16 v57, v22, s10, v25 op_sel_hi:[1,0,0]
	v_pk_add_f16 v29, v29, v23 op_sel_hi:[0,1]
	v_pk_fma_f16 v36, v24, s8, v36 op_sel_hi:[1,0,0]
	v_pk_fma_f16 v58, v3, s10, v25 op_sel_hi:[1,0,0]
	ds_read2_b32 v[2:3], v53 offset0:2 offset1:3
	ds_read2_b32 v[22:23], v53 offset0:4 offset1:5
	ds_read2_b32 v[24:25], v53 offset0:6 offset1:7
	s_waitcnt lgkmcnt(3)
	v_pk_fma_f16 v59, v38, v0, 0
	v_pk_fma_f16 v60, v42, v0, 0
	v_pk_fma_f16 v59, v39, v1, v59
	v_pk_fma_f16 v60, v43, v1, v60
	s_waitcnt lgkmcnt(2)
	v_pk_fma_f16 v59, v40, v2, v59
	v_pk_fma_f16 v60, v44, v2, v60
	v_pk_fma_f16 v59, v41, v3, v59
	v_pk_fma_f16 v60, v45, v3, v60
	;; [unrolled: 5-line block ×4, first 2 shown]
	v_pack_b32_f16 v61, v59, v60
	v_perm_b32 v59, v60, v59, s11
	v_pk_add_f16 v59, v61, v59
	v_pk_fma_f16 v16, v59, v6, v16
	v_pk_fma_f16 v59, v46, v0, 0
	v_pk_fma_f16 v0, v54, v0, 0
	v_pk_fma_f16 v59, v47, v1, v59
	v_pk_fma_f16 v0, v55, v1, v0
	v_pk_fma_f16 v59, v51, v2, v59
	v_pk_fma_f16 v0, v56, v2, v0
	v_pk_fma_f16 v59, v52, v3, v59
	v_pk_fma_f16 v0, v57, v3, v0
	v_pk_fma_f16 v59, v28, v22, v59
	v_pk_fma_f16 v0, v29, v22, v0
	v_pk_fma_f16 v59, v34, v23, v59
	v_pk_fma_f16 v0, v36, v23, v0
	v_pk_fma_f16 v59, v35, v24, v59
	v_pk_fma_f16 v0, v37, v24, v0
	v_pk_fma_f16 v59, v48, v25, v59
	v_pk_fma_f16 v0, v58, v25, v0
	v_pack_b32_f16 v1, v59, v0
	v_perm_b32 v0, v0, v59, s11
	v_pk_add_f16 v2, v1, v0
	ds_read2_b32 v[0:1], v53 offset0:64 offset1:65
	v_pk_fma_f16 v13, v2, v7, v13
	ds_read2_b32 v[2:3], v53 offset0:66 offset1:67
	ds_read2_b32 v[22:23], v53 offset0:68 offset1:69
	;; [unrolled: 1-line block ×3, first 2 shown]
	s_add_i32 s4, s4, 32
	s_cmp_ge_i32 s22, s23
	s_waitcnt lgkmcnt(3)
	v_pk_fma_f16 v38, v38, v0, 0
	v_pk_fma_f16 v38, v39, v1, v38
	s_waitcnt lgkmcnt(2)
	v_pk_fma_f16 v38, v40, v2, v38
	v_pk_fma_f16 v38, v41, v3, v38
	;; [unrolled: 3-line block ×3, first 2 shown]
	v_pk_fma_f16 v30, v42, v0, 0
	v_pk_fma_f16 v30, v43, v1, v30
	;; [unrolled: 1-line block ×6, first 2 shown]
	s_waitcnt lgkmcnt(0)
	v_pk_fma_f16 v26, v31, v24, v26
	v_pk_fma_f16 v27, v33, v24, v27
	;; [unrolled: 1-line block ×4, first 2 shown]
	v_pack_b32_f16 v30, v26, v27
	v_perm_b32 v26, v27, v26, s11
	v_pk_add_f16 v26, v30, v26
	v_pk_fma_f16 v11, v26, v6, v11
	v_pk_fma_f16 v26, v46, v0, 0
	;; [unrolled: 1-line block ×17, first 2 shown]
	v_pack_b32_f16 v1, v26, v0
	v_perm_b32 v0, v0, v26, s11
	v_pk_add_f16 v0, v1, v0
	v_pk_fma_f16 v10, v0, v7, v10
	v_mov_b32_e32 v0, s3
	v_addc_co_u32_e32 v9, vcc, v9, v0, vcc
	s_cbranch_scc1 .LBB19_12
.LBB19_10:                              ; =>This Inner Loop Header: Depth=1
	s_cmp_lg_u32 s22, s15
	s_cbranch_scc1 .LBB19_9
; %bb.11:                               ;   in Loop: Header=BB19_10 Depth=1
	s_add_i32 s6, s6, 1
	s_mul_i32 s1, s6, s0
	s_ashr_i32 s12, s1, 31
	s_lshr_b32 s12, s12, 28
	s_add_i32 s12, s1, s12
	s_ashr_i32 s12, s12, 4
	v_add_u32_e32 v0, s12, v12
	v_ashrrev_i32_e32 v1, 31, v0
	v_lshlrev_b64 v[0:1], 2, v[0:1]
	v_add_co_u32_e32 v0, vcc, s14, v0
	v_addc_co_u32_e32 v1, vcc, v14, v1, vcc
	global_load_dword v2, v[0:1], off
	v_add_u32_e32 v0, s1, v4
	v_ashrrev_i32_e32 v1, 31, v0
	v_lshlrev_b64 v[0:1], 1, v[0:1]
	v_add_co_u32_e32 v0, vcc, s16, v0
	v_addc_co_u32_e32 v1, vcc, v15, v1, vcc
	global_load_dwordx2 v[6:7], v[0:1], off
	s_add_i32 s15, s15, s5
	s_waitcnt vmcnt(1)
	v_lshrrev_b32_e32 v0, v17, v2
	v_bfe_u32 v18, v2, v17, 2
	v_bfe_u32 v19, v0, 2, 2
	;; [unrolled: 1-line block ×4, first 2 shown]
	s_branch .LBB19_9
.LBB19_12:
	s_mul_i32 s7, s7, s0
	v_add_u32_e32 v0, s7, v4
	v_ashrrev_i32_e32 v1, 31, v0
	v_lshlrev_b64 v[2:3], 1, v[0:1]
	v_mov_b32_e32 v1, s19
	v_add_co_u32_e32 v2, vcc, s18, v2
	v_addc_co_u32_e32 v3, vcc, v1, v3, vcc
	global_load_dword v5, v[2:3], off
	s_mov_b64 s[2:3], 0
.LBB19_13:                              ; =>This Inner Loop Header: Depth=1
	s_waitcnt vmcnt(0)
	v_pk_add_f16 v4, v16, v5
	global_atomic_cmpswap v1, v[2:3], v[4:5], off glc
	s_waitcnt vmcnt(0)
	v_cmp_eq_u32_e32 vcc, v5, v1
	s_or_b64 s[2:3], vcc, s[2:3]
	v_mov_b32_e32 v5, v1
	s_andn2_b64 exec, exec, s[2:3]
	s_cbranch_execnz .LBB19_13
; %bb.14:
	s_or_b64 exec, exec, s[2:3]
	global_load_dword v5, v[2:3], off offset:4
	s_mov_b64 s[2:3], 0
.LBB19_15:                              ; =>This Inner Loop Header: Depth=1
	s_waitcnt vmcnt(0)
	v_pk_add_f16 v4, v13, v5
	global_atomic_cmpswap v1, v[2:3], v[4:5], off offset:4 glc
	s_waitcnt vmcnt(0)
	v_cmp_eq_u32_e32 vcc, v5, v1
	s_or_b64 s[2:3], vcc, s[2:3]
	v_mov_b32_e32 v5, v1
	s_andn2_b64 exec, exec, s[2:3]
	s_cbranch_execnz .LBB19_15
; %bb.16:
	s_or_b64 exec, exec, s[2:3]
	v_add_u32_e32 v0, s0, v0
	v_ashrrev_i32_e32 v1, 31, v0
	v_lshlrev_b64 v[0:1], 1, v[0:1]
	v_mov_b32_e32 v2, s19
	v_add_co_u32_e32 v0, vcc, s18, v0
	v_addc_co_u32_e32 v1, vcc, v2, v1, vcc
	global_load_dword v3, v[0:1], off
	s_mov_b64 s[0:1], 0
.LBB19_17:                              ; =>This Inner Loop Header: Depth=1
	s_waitcnt vmcnt(0)
	v_pk_add_f16 v2, v11, v3
	global_atomic_cmpswap v2, v[0:1], v[2:3], off glc
	s_waitcnt vmcnt(0)
	v_cmp_eq_u32_e32 vcc, v3, v2
	s_or_b64 s[0:1], vcc, s[0:1]
	v_mov_b32_e32 v3, v2
	s_andn2_b64 exec, exec, s[0:1]
	s_cbranch_execnz .LBB19_17
; %bb.18:
	s_or_b64 exec, exec, s[0:1]
	global_load_dword v3, v[0:1], off offset:4
	s_mov_b64 s[0:1], 0
.LBB19_19:                              ; =>This Inner Loop Header: Depth=1
	s_waitcnt vmcnt(0)
	v_pk_add_f16 v2, v10, v3
	global_atomic_cmpswap v2, v[0:1], v[2:3], off offset:4 glc
	s_waitcnt vmcnt(0)
	v_cmp_eq_u32_e32 vcc, v3, v2
	s_or_b64 s[0:1], vcc, s[0:1]
	v_mov_b32_e32 v3, v2
	s_andn2_b64 exec, exec, s[0:1]
	s_cbranch_execnz .LBB19_19
.LBB19_20:
	s_endpgm
	.section	.rodata,"a",@progbits
	.p2align	6, 0x0
	.amdhsa_kernel _ZN4vllm4gptq33gemm_half_q_half_gptq_2bit_kernelILb1ELi2EEEvPK6__halfPKjS6_S4_PS2_iiiibPKi
		.amdhsa_group_segment_fixed_size 512
		.amdhsa_private_segment_fixed_size 0
		.amdhsa_kernarg_size 72
		.amdhsa_user_sgpr_count 6
		.amdhsa_user_sgpr_private_segment_buffer 1
		.amdhsa_user_sgpr_dispatch_ptr 0
		.amdhsa_user_sgpr_queue_ptr 0
		.amdhsa_user_sgpr_kernarg_segment_ptr 1
		.amdhsa_user_sgpr_dispatch_id 0
		.amdhsa_user_sgpr_flat_scratch_init 0
		.amdhsa_user_sgpr_kernarg_preload_length 0
		.amdhsa_user_sgpr_kernarg_preload_offset 0
		.amdhsa_user_sgpr_private_segment_size 0
		.amdhsa_uses_dynamic_stack 0
		.amdhsa_system_sgpr_private_segment_wavefront_offset 0
		.amdhsa_system_sgpr_workgroup_id_x 1
		.amdhsa_system_sgpr_workgroup_id_y 1
		.amdhsa_system_sgpr_workgroup_id_z 1
		.amdhsa_system_sgpr_workgroup_info 0
		.amdhsa_system_vgpr_workitem_id 0
		.amdhsa_next_free_vgpr 62
		.amdhsa_next_free_sgpr 26
		.amdhsa_accum_offset 64
		.amdhsa_reserve_vcc 1
		.amdhsa_reserve_flat_scratch 0
		.amdhsa_float_round_mode_32 0
		.amdhsa_float_round_mode_16_64 0
		.amdhsa_float_denorm_mode_32 3
		.amdhsa_float_denorm_mode_16_64 3
		.amdhsa_dx10_clamp 1
		.amdhsa_ieee_mode 1
		.amdhsa_fp16_overflow 0
		.amdhsa_tg_split 0
		.amdhsa_exception_fp_ieee_invalid_op 0
		.amdhsa_exception_fp_denorm_src 0
		.amdhsa_exception_fp_ieee_div_zero 0
		.amdhsa_exception_fp_ieee_overflow 0
		.amdhsa_exception_fp_ieee_underflow 0
		.amdhsa_exception_fp_ieee_inexact 0
		.amdhsa_exception_int_div_zero 0
	.end_amdhsa_kernel
	.section	.text._ZN4vllm4gptq33gemm_half_q_half_gptq_2bit_kernelILb1ELi2EEEvPK6__halfPKjS6_S4_PS2_iiiibPKi,"axG",@progbits,_ZN4vllm4gptq33gemm_half_q_half_gptq_2bit_kernelILb1ELi2EEEvPK6__halfPKjS6_S4_PS2_iiiibPKi,comdat
.Lfunc_end19:
	.size	_ZN4vllm4gptq33gemm_half_q_half_gptq_2bit_kernelILb1ELi2EEEvPK6__halfPKjS6_S4_PS2_iiiibPKi, .Lfunc_end19-_ZN4vllm4gptq33gemm_half_q_half_gptq_2bit_kernelILb1ELi2EEEvPK6__halfPKjS6_S4_PS2_iiiibPKi
                                        ; -- End function
	.section	.AMDGPU.csdata,"",@progbits
; Kernel info:
; codeLenInByte = 3032
; NumSgprs: 30
; NumVgprs: 62
; NumAgprs: 0
; TotalNumVgprs: 62
; ScratchSize: 0
; MemoryBound: 0
; FloatMode: 240
; IeeeMode: 1
; LDSByteSize: 512 bytes/workgroup (compile time only)
; SGPRBlocks: 3
; VGPRBlocks: 7
; NumSGPRsForWavesPerEU: 30
; NumVGPRsForWavesPerEU: 62
; AccumOffset: 64
; Occupancy: 8
; WaveLimiterHint : 0
; COMPUTE_PGM_RSRC2:SCRATCH_EN: 0
; COMPUTE_PGM_RSRC2:USER_SGPR: 6
; COMPUTE_PGM_RSRC2:TRAP_HANDLER: 0
; COMPUTE_PGM_RSRC2:TGID_X_EN: 1
; COMPUTE_PGM_RSRC2:TGID_Y_EN: 1
; COMPUTE_PGM_RSRC2:TGID_Z_EN: 1
; COMPUTE_PGM_RSRC2:TIDIG_COMP_CNT: 0
; COMPUTE_PGM_RSRC3_GFX90A:ACCUM_OFFSET: 15
; COMPUTE_PGM_RSRC3_GFX90A:TG_SPLIT: 0
	.section	.text._ZN4vllm4gptq33gemm_half_q_half_gptq_3bit_kernelILb1ELi2EEEvPK6__halfPKjS6_S4_PS2_iiiibPKi,"axG",@progbits,_ZN4vllm4gptq33gemm_half_q_half_gptq_3bit_kernelILb1ELi2EEEvPK6__halfPKjS6_S4_PS2_iiiibPKi,comdat
	.protected	_ZN4vllm4gptq33gemm_half_q_half_gptq_3bit_kernelILb1ELi2EEEvPK6__halfPKjS6_S4_PS2_iiiibPKi ; -- Begin function _ZN4vllm4gptq33gemm_half_q_half_gptq_3bit_kernelILb1ELi2EEEvPK6__halfPKjS6_S4_PS2_iiiibPKi
	.globl	_ZN4vllm4gptq33gemm_half_q_half_gptq_3bit_kernelILb1ELi2EEEvPK6__halfPKjS6_S4_PS2_iiiibPKi
	.p2align	8
	.type	_ZN4vllm4gptq33gemm_half_q_half_gptq_3bit_kernelILb1ELi2EEEvPK6__halfPKjS6_S4_PS2_iiiibPKi,@function
_ZN4vllm4gptq33gemm_half_q_half_gptq_3bit_kernelILb1ELi2EEEvPK6__halfPKjS6_S4_PS2_iiiibPKi: ; @_ZN4vllm4gptq33gemm_half_q_half_gptq_3bit_kernelILb1ELi2EEEvPK6__halfPKjS6_S4_PS2_iiiibPKi
; %bb.0:
	s_load_dwordx8 s[12:19], s[4:5], 0x8
	s_load_dwordx4 s[20:23], s[4:5], 0x2c
	s_lshl_b32 s25, s8, 7
	s_add_i32 s0, s25, 0x80
	v_cvt_f64_u32_e32 v[2:3], s0
	s_lshl_b32 s24, s7, 1
	s_waitcnt lgkmcnt(0)
	v_cvt_f64_i32_e32 v[4:5], s21
	v_min_f64 v[2:3], v[2:3], v[4:5]
	v_cvt_i32_f64_e32 v1, v[2:3]
	v_add_u32_e32 v2, s25, v0
	v_readfirstlane_b32 s26, v1
	v_cmp_lt_u32_e32 vcc, v2, v1
	s_and_saveexec_b64 s[0:1], vcc
	s_cbranch_execz .LBB20_6
; %bb.1:
	s_load_dwordx2 s[8:9], s[4:5], 0x40
	s_load_dwordx2 s[2:3], s[4:5], 0x0
	v_mov_b32_e32 v3, 0
	v_lshlrev_b64 v[4:5], 2, v[2:3]
	v_pk_mov_b32 v[6:7], v[2:3], v[2:3] op_sel:[0,1]
	s_waitcnt lgkmcnt(0)
	s_cmp_lg_u64 s[8:9], 0
	v_mov_b32_e32 v1, s9
	v_add_co_u32_e32 v4, vcc, s8, v4
	s_cselect_b64 s[4:5], -1, 0
	s_cmp_eq_u64 s[8:9], 0
	v_addc_co_u32_e32 v5, vcc, v1, v5, vcc
	s_cbranch_scc1 .LBB20_3
; %bb.2:
	global_load_dword v6, v[4:5], off
	s_waitcnt vmcnt(0)
	v_ashrrev_i32_e32 v7, 31, v6
.LBB20_3:
	s_mul_i32 s8, s24, s21
	s_ashr_i32 s9, s8, 31
	s_lshl_b64 s[10:11], s[8:9], 1
	s_add_u32 s7, s2, s10
	s_addc_u32 s9, s3, s11
	v_lshlrev_b64 v[6:7], 1, v[6:7]
	v_mov_b32_e32 v1, s9
	v_add_co_u32_e32 v6, vcc, s7, v6
	v_addc_co_u32_e32 v7, vcc, v1, v7, vcc
	global_load_ushort v6, v[6:7], off
	v_lshlrev_b32_e32 v1, 1, v0
	s_andn2_b64 vcc, exec, s[4:5]
	s_waitcnt vmcnt(0)
	ds_write_b16 v1, v6
	s_cbranch_vccnz .LBB20_5
; %bb.4:
	global_load_dword v2, v[4:5], off
	s_waitcnt vmcnt(0)
	v_ashrrev_i32_e32 v3, 31, v2
.LBB20_5:
	s_add_i32 s4, s8, s21
	s_ashr_i32 s5, s4, 31
	s_lshl_b64 s[4:5], s[4:5], 1
	s_add_u32 s2, s2, s4
	s_addc_u32 s3, s3, s5
	v_lshlrev_b64 v[2:3], 1, v[2:3]
	v_mov_b32_e32 v4, s3
	v_add_co_u32_e32 v2, vcc, s2, v2
	v_addc_co_u32_e32 v3, vcc, v4, v3, vcc
	global_load_ushort v2, v[2:3], off
	s_waitcnt vmcnt(0)
	ds_write_b16 v1, v2 offset:256
.LBB20_6:
	s_or_b64 exec, exec, s[0:1]
	v_lshlrev_b32_e32 v0, 2, v0
	v_lshl_add_u32 v12, s6, 9, v0
	v_cmp_gt_i32_e32 vcc, s20, v12
	s_and_saveexec_b64 s[0:1], vcc
	s_cbranch_execz .LBB20_52
; %bb.7:
	s_abs_i32 s0, s22
	v_cvt_f32_u32_e32 v1, s0
	s_sub_i32 s3, 0, s0
	s_abs_i32 s2, s21
	s_xor_b32 s1, s21, s22
	v_rcp_iflag_f32_e32 v1, v1
	s_ashr_i32 s1, s1, 31
	v_and_b32_e32 v2, 28, v0
	v_cmp_lt_u32_e32 vcc, 4, v2
	v_mul_f32_e32 v1, 0x4f7ffffe, v1
	v_cvt_u32_f32_e32 v1, v1
	s_waitcnt lgkmcnt(0)
	s_barrier
	v_readfirstlane_b32 s4, v1
	s_mul_i32 s3, s3, s4
	s_mul_hi_u32 s3, s4, s3
	s_add_i32 s4, s4, s3
	s_mul_hi_u32 s3, s2, s4
	s_mul_i32 s4, s3, s0
	s_sub_i32 s2, s2, s4
	s_add_i32 s5, s3, 1
	s_sub_i32 s4, s2, s0
	s_cmp_ge_u32 s2, s0
	s_cselect_b32 s3, s5, s3
	s_cselect_b32 s2, s4, s2
	s_add_i32 s4, s3, 1
	s_cmp_ge_u32 s2, s0
	s_cselect_b32 s0, s4, s3
	s_xor_b32 s0, s0, s1
	s_sub_i32 s27, s0, s1
	v_cvt_f32_u32_e32 v1, s27
	s_sub_i32 s0, 0, s27
                                        ; implicit-def: $vgpr3
                                        ; implicit-def: $vgpr4
	v_rcp_iflag_f32_e32 v1, v1
	v_mul_f32_e32 v1, 0x4f7ffffe, v1
	v_cvt_u32_f32_e32 v1, v1
	v_readfirstlane_b32 s1, v1
	s_mul_i32 s0, s0, s1
	s_mul_hi_u32 s0, s1, s0
	s_add_i32 s1, s1, s0
	s_mul_hi_u32 s0, s25, s1
	s_mul_i32 s1, s0, s27
	s_sub_i32 s1, s25, s1
	s_add_i32 s2, s0, 1
	s_sub_i32 s3, s1, s27
	s_cmp_ge_u32 s1, s27
	s_cselect_b32 s0, s2, s0
	s_cselect_b32 s1, s3, s1
	s_add_i32 s2, s0, 1
	s_cmp_ge_u32 s1, s27
	s_cselect_b32 s28, s2, s0
	s_and_saveexec_b64 s[0:1], vcc
	s_xor_b64 s[2:3], exec, s[0:1]
	s_cbranch_execz .LBB20_21
; %bb.8:
	v_cmp_ne_u32_e64 s[0:1], 8, v2
                                        ; implicit-def: $vgpr3
                                        ; implicit-def: $vgpr4
	s_and_saveexec_b64 s[4:5], s[0:1]
	s_xor_b64 s[4:5], exec, s[4:5]
	s_cbranch_execz .LBB20_18
; %bb.9:
	v_cmp_lt_u32_e64 s[0:1], 16, v2
                                        ; implicit-def: $vgpr3
                                        ; implicit-def: $vgpr4
	s_and_saveexec_b64 s[6:7], s[0:1]
	s_xor_b64 s[6:7], exec, s[6:7]
	s_cbranch_execz .LBB20_15
; %bb.10:
	s_mul_i32 s8, s28, s20
	v_lshl_add_u32 v0, v12, 1, v12
	s_ashr_i32 s0, s8, 31
	v_ashrrev_i32_e32 v1, 31, v0
	s_lshr_b32 s0, s0, 27
	v_lshrrev_b32_e32 v1, 27, v1
	s_add_i32 s0, s8, s0
	v_add_u32_e32 v0, v0, v1
	s_ashr_i32 s0, s0, 5
	v_ashrrev_i32_e32 v0, 5, v0
	v_mad_u64_u32 v[0:1], s[0:1], s0, 3, v[0:1]
	v_ashrrev_i32_e32 v1, 31, v0
	v_lshlrev_b64 v[0:1], 2, v[0:1]
	v_mov_b32_e32 v3, s15
	v_add_co_u32_e64 v0, s[0:1], s14, v0
	v_addc_co_u32_e64 v1, s[0:1], v3, v1, s[0:1]
	global_load_dword v5, v[0:1], off
	v_cmp_ne_u32_e64 s[0:1], 20, v2
                                        ; implicit-def: $vgpr3
	s_and_saveexec_b64 s[10:11], s[0:1]
	s_xor_b64 s[0:1], exec, s[10:11]
	s_cbranch_execz .LBB20_12
; %bb.11:
	v_not_b32_e32 v0, 63
	v_mad_u32_u24 v0, v2, 3, v0
	s_waitcnt vmcnt(0)
	v_lshrrev_b32_e32 v3, v0, v5
                                        ; implicit-def: $vgpr0_vgpr1
                                        ; implicit-def: $vgpr5
.LBB20_12:
	s_or_saveexec_b64 s[0:1], s[0:1]
	v_mov_b32_e32 v4, s8
	s_xor_b64 exec, exec, s[0:1]
	s_cbranch_execz .LBB20_14
; %bb.13:
	global_load_dword v0, v[0:1], off offset:4
	v_mov_b32_e32 v4, s8
	s_waitcnt vmcnt(0)
	v_alignbit_b32 v0, v0, v5, 28
	v_and_b32_e32 v3, 0xfff, v0
.LBB20_14:
	s_or_b64 exec, exec, s[0:1]
.LBB20_15:
	s_andn2_saveexec_b64 s[6:7], s[6:7]
	s_cbranch_execz .LBB20_17
; %bb.16:
	s_mul_i32 s8, s28, s20
	v_lshl_add_u32 v0, v12, 1, v12
	s_ashr_i32 s0, s8, 31
	v_ashrrev_i32_e32 v1, 31, v0
	s_lshr_b32 s0, s0, 27
	v_lshrrev_b32_e32 v1, 27, v1
	s_add_i32 s0, s8, s0
	v_add_u32_e32 v0, v0, v1
	s_ashr_i32 s0, s0, 5
	v_ashrrev_i32_e32 v0, 5, v0
	v_mad_u64_u32 v[0:1], s[0:1], s0, 3, v[0:1]
	v_ashrrev_i32_e32 v1, 31, v0
	v_lshlrev_b64 v[0:1], 2, v[0:1]
	v_mov_b32_e32 v3, s15
	v_add_co_u32_e64 v0, s[0:1], s14, v0
	v_addc_co_u32_e64 v1, s[0:1], v3, v1, s[0:1]
	global_load_dword v0, v[0:1], off
	v_not_b32_e32 v1, 31
	v_mad_u32_u24 v1, v2, 3, v1
	v_mov_b32_e32 v4, s8
	s_waitcnt vmcnt(0)
	v_lshrrev_b32_e32 v3, v1, v0
.LBB20_17:
	s_or_b64 exec, exec, s[6:7]
.LBB20_18:
	s_andn2_saveexec_b64 s[4:5], s[4:5]
	s_cbranch_execz .LBB20_20
; %bb.19:
	s_mul_i32 s6, s28, s20
	v_lshl_add_u32 v0, v12, 1, v12
	s_ashr_i32 s0, s6, 31
	v_ashrrev_i32_e32 v1, 31, v0
	s_lshr_b32 s0, s0, 27
	v_lshrrev_b32_e32 v1, 27, v1
	s_add_i32 s0, s6, s0
	v_add_u32_e32 v0, v0, v1
	s_ashr_i32 s0, s0, 5
	v_ashrrev_i32_e32 v0, 5, v0
	v_mad_u64_u32 v[0:1], s[0:1], s0, 3, v[0:1]
	v_ashrrev_i32_e32 v1, 31, v0
	v_lshlrev_b64 v[0:1], 2, v[0:1]
	v_mov_b32_e32 v3, s15
	v_add_co_u32_e64 v0, s[0:1], s14, v0
	v_addc_co_u32_e64 v1, s[0:1], v3, v1, s[0:1]
	global_load_dwordx2 v[0:1], v[0:1], off
	s_mov_b32 s0, 0x2010007
	v_mov_b32_e32 v4, s6
	s_waitcnt vmcnt(0)
	v_perm_b32 v0, v0, v1, s0
	v_and_b32_e32 v3, 0xfff, v0
.LBB20_20:
	s_or_b64 exec, exec, s[4:5]
.LBB20_21:
	s_or_saveexec_b64 s[2:3], s[2:3]
	v_lshl_add_u32 v0, v12, 1, v12
	v_ashrrev_i32_e32 v1, 31, v0
	v_mul_u32_u24_e32 v15, 3, v2
	s_xor_b64 exec, exec, s[2:3]
	s_cbranch_execz .LBB20_23
; %bb.22:
	s_mul_i32 s4, s28, s20
	s_ashr_i32 s0, s4, 31
	s_lshr_b32 s0, s0, 27
	v_lshrrev_b32_e32 v3, 27, v1
	s_add_i32 s0, s4, s0
	v_add_u32_e32 v3, v0, v3
	s_ashr_i32 s0, s0, 5
	v_ashrrev_i32_e32 v4, 5, v3
	s_waitcnt vmcnt(0)
	v_mad_u64_u32 v[4:5], s[0:1], s0, 3, v[4:5]
	v_ashrrev_i32_e32 v5, 31, v4
	v_lshlrev_b64 v[4:5], 2, v[4:5]
	v_mov_b32_e32 v3, s15
	v_add_co_u32_e64 v4, s[0:1], s14, v4
	v_addc_co_u32_e64 v5, s[0:1], v3, v5, s[0:1]
	global_load_dword v3, v[4:5], off
	v_mov_b32_e32 v4, s4
	s_waitcnt vmcnt(0)
	v_lshrrev_b32_e32 v3, v15, v3
.LBB20_23:
	s_or_b64 exec, exec, s[2:3]
	s_cmp_ge_i32 s25, s26
	v_mov_b32_e32 v23, 0
	v_mov_b32_e32 v21, 0
	;; [unrolled: 1-line block ×4, first 2 shown]
	s_cbranch_scc1 .LBB20_44
; %bb.24:
	v_add_u32_e32 v4, v4, v12
	s_waitcnt vmcnt(0)
	v_ashrrev_i32_e32 v5, 31, v4
	v_lshlrev_b64 v[4:5], 1, v[4:5]
	v_mov_b32_e32 v6, s17
	v_add_co_u32_e64 v4, s[0:1], s16, v4
	v_addc_co_u32_e64 v5, s[0:1], v6, v5, s[0:1]
	global_load_dwordx2 v[18:19], v[4:5], off
	s_lshr_b32 s0, s25, 5
	s_mul_i32 s0, s0, s20
	s_mul_i32 s6, s0, 3
	s_add_i32 s29, s27, s25
	s_ashr_i32 s7, s6, 31
	s_bitcmp1_b32 s23, 0
	v_lshrrev_b32_e32 v1, 27, v1
	s_cselect_b64 s[0:1], -1, 0
	v_add_u32_e32 v0, v0, v1
	s_xor_b64 s[0:1], s[0:1], -1
	v_ashrrev_i32_e32 v14, 5, v0
	v_not_b32_e32 v0, 63
	s_ashr_i32 s21, s20, 31
	s_lshl_b64 s[6:7], s[6:7], 2
	v_ashrrev_i32_e32 v13, 31, v12
	v_mad_u32_u24 v24, v2, 3, v0
	v_not_b32_e32 v0, 31
	s_add_u32 s6, s12, s6
	v_mad_u32_u24 v25, v2, 3, v0
	v_lshlrev_b64 v[0:1], 2, v[12:13]
	s_addc_u32 s7, s13, s7
	v_cndmask_b32_e64 v22, 0, 1, s[0:1]
	v_cmp_ne_u32_e64 s[0:1], 8, v2
	v_cmp_lt_u32_e64 s[2:3], 16, v2
	v_cmp_ne_u32_e64 s[4:5], 20, v2
	v_mov_b32_e32 v2, s7
	v_add_co_u32_e64 v16, s[6:7], s6, v0
	v_and_b32_e32 v26, 7, v3
	v_bfe_u32 v27, v3, 3, 3
	v_bfe_u32 v28, v3, 6, 3
	;; [unrolled: 1-line block ×3, first 2 shown]
	v_addc_co_u32_e64 v17, s[6:7], v2, v1, s[6:7]
	s_mul_hi_i32 s30, s20, 12
	s_mul_i32 s31, s20, 12
	s_lshl_b64 s[8:9], s[20:21], 2
	s_mov_b32 s21, 0
	v_mov_b32_e32 v13, 0
	s_mov_b32 s33, 0x2010007
	s_mov_b32 s34, 0x64006400
	;; [unrolled: 1-line block ×3, first 2 shown]
	s_movk_i32 s36, 0x3000
	s_movk_i32 s37, 0x2400
	s_mov_b32 s38, 0x7060302
	v_mov_b32_e32 v20, 0
	v_mov_b32_e32 v21, 0
	v_mov_b32_e32 v23, 0
	s_branch .LBB20_27
.LBB20_25:                              ;   in Loop: Header=BB20_27 Depth=1
	s_or_b64 exec, exec, s[6:7]
	v_add_u32_e32 v0, s39, v12
	v_ashrrev_i32_e32 v1, 31, v0
	v_lshlrev_b64 v[0:1], 1, v[0:1]
	s_waitcnt vmcnt(0)
	v_mov_b32_e32 v3, s17
	v_add_co_u32_e64 v0, s[6:7], s16, v0
	v_addc_co_u32_e64 v1, s[6:7], v3, v1, s[6:7]
	global_load_dwordx2 v[18:19], v[0:1], off
	s_add_i32 s29, s29, s27
	v_and_b32_e32 v26, 7, v2
	v_bfe_u32 v27, v2, 3, 3
	v_bfe_u32 v28, v2, 6, 3
	;; [unrolled: 1-line block ×3, first 2 shown]
.LBB20_26:                              ;   in Loop: Header=BB20_27 Depth=1
	v_mov_b32_e32 v2, s9
	v_add_co_u32_e64 v0, s[6:7], s8, v16
	v_addc_co_u32_e64 v1, s[6:7], v17, v2, s[6:7]
	global_load_dwordx4 v[8:11], v[16:17], off
	global_load_dwordx4 v[4:7], v[0:1], off
	v_add_co_u32_e64 v0, s[6:7], s8, v0
	v_addc_co_u32_e64 v1, s[6:7], v1, v2, s[6:7]
	global_load_dwordx4 v[0:3], v[0:1], off
	v_add_u32_e32 v30, v26, v22
	v_add_u32_e32 v31, v27, v22
	v_add_u32_e32 v34, v28, v22
	v_cvt_f32_i32_e32 v36, v30
	v_or_b32_e32 v32, 0xffffe400, v31
	v_cvt_f32_i32_e32 v37, v31
	v_or_b32_e32 v31, 0xffffe400, v34
	v_cvt_f32_i32_e32 v34, v34
	v_add_u32_e32 v35, v29, v22
	v_or_b32_e32 v33, 0xffffe400, v30
	v_or_b32_e32 v30, 0xffffe400, v35
	v_cvt_f32_i32_e32 v35, v35
	v_cvt_f16_f32_e32 v65, v36
	v_cvt_f16_f32_e32 v67, v34
	;; [unrolled: 1-line block ×4, first 2 shown]
	v_sub_f16_e32 v43, 0xd800, v65
	s_add_i32 s25, s25, 32
	v_sub_f16_e32 v50, 0xd800, v66
	v_add_co_u32_e64 v16, s[6:7], s31, v16
	s_waitcnt vmcnt(2)
	v_and_b32_e32 v37, 0x70007, v8
	v_and_b32_e32 v38, 0x380038, v8
	;; [unrolled: 1-line block ×3, first 2 shown]
	v_lshrrev_b32_e32 v72, 6, v8
	v_lshrrev_b32_e32 v36, 15, v8
	v_and_b32_e32 v8, 0x70007, v9
	v_and_b32_e32 v39, 0x380038, v9
	v_lshrrev_b32_e32 v71, 6, v9
	v_lshrrev_b32_e32 v35, 15, v9
	v_and_b32_e32 v60, 0x380038, v10
	v_lshrrev_b32_e32 v84, 6, v10
	v_lshrrev_b32_e32 v34, 15, v10
	v_and_b32_e32 v61, 0x70007, v11
	v_and_b32_e32 v62, 0x380038, v11
	v_lshrrev_b32_e32 v83, 6, v11
	v_lshrrev_b32_e32 v10, 15, v11
	v_or_b32_e32 v9, 0x64006400, v37
	v_or_b32_e32 v11, 0x64006400, v38
	s_waitcnt vmcnt(0)
	v_and_b32_e32 v52, 0x70007, v0
	v_and_b32_e32 v53, 0x380038, v0
	v_lshrrev_b32_e32 v48, 6, v0
	v_lshrrev_b32_e32 v49, 13, v0
	v_or_b32_e32 v0, 0x64006400, v51
	v_or_b32_e32 v41, 0x64006400, v8
	v_pk_add_f16 v8, v33, v9 op_sel_hi:[0,1]
	v_pk_fma_f16 v9, v11, s36, v43 op_sel_hi:[1,0,0]
	v_and_b32_e32 v54, 0x70007, v1
	v_and_b32_e32 v55, 0x380038, v1
	v_lshrrev_b32_e32 v46, 6, v1
	v_lshrrev_b32_e32 v47, 13, v1
	v_and_b32_e32 v56, 0x70007, v2
	v_and_b32_e32 v57, 0x380038, v2
	v_lshrrev_b32_e32 v44, 6, v2
	v_lshrrev_b32_e32 v45, 13, v2
	v_or_b32_e32 v1, 0x64006400, v60
	v_pk_add_f16 v2, v31, v0 op_sel_hi:[0,1]
	v_sub_f16_e32 v51, 0xd800, v67
	v_or_b32_e32 v0, 0x64006400, v61
	v_mov_b32_e32 v11, s21
	v_or_b32_e32 v63, 0x64006400, v39
	v_and_b32_e32 v81, 0x70007, v4
	v_and_b32_e32 v76, 0x380038, v4
	v_lshrrev_b32_e32 v80, 6, v4
	v_lshrrev_b32_e32 v40, 14, v4
	v_and_b32_e32 v87, 0x70007, v5
	v_and_b32_e32 v75, 0x380038, v5
	v_lshrrev_b32_e32 v79, 6, v5
	v_lshrrev_b32_e32 v39, 14, v5
	v_pk_add_f16 v4, v32, v41 op_sel_hi:[0,1]
	v_and_b32_e32 v58, 0x70007, v3
	v_and_b32_e32 v59, 0x380038, v3
	v_lshrrev_b32_e32 v41, 6, v3
	v_lshrrev_b32_e32 v42, 13, v3
	v_pk_fma_f16 v3, v1, s36, v51 op_sel_hi:[1,0,0]
	v_pk_add_f16 v5, v30, v0 op_sel_hi:[0,1]
	ds_read2_b32 v[0:1], v11 offset1:1
	v_and_b32_e32 v86, 0x70007, v6
	v_and_b32_e32 v74, 0x380038, v6
	v_lshrrev_b32_e32 v78, 6, v6
	v_lshrrev_b32_e32 v38, 14, v6
	s_waitcnt lgkmcnt(0)
	v_pk_fma_f16 v61, v8, v0, 0
	v_and_b32_e32 v85, 0x70007, v7
	v_and_b32_e32 v73, 0x380038, v7
	v_lshrrev_b32_e32 v77, 6, v7
	v_lshrrev_b32_e32 v37, 14, v7
	v_pk_fma_f16 v7, v63, s36, v50 op_sel_hi:[1,0,0]
	v_or_b32_e32 v6, 0x64006400, v62
	v_sub_f16_e32 v60, 0xd800, v68
	v_pk_fma_f16 v82, v9, v1, v61
	v_pk_fma_f16 v61, v4, v0, 0
	v_pk_fma_f16 v6, v6, s36, v60 op_sel_hi:[1,0,0]
	v_pk_fma_f16 v92, v7, v1, v61
	v_pk_fma_f16 v61, v2, v0, 0
	;; [unrolled: 1-line block ×4, first 2 shown]
	v_and_b32_e32 v0, 0x70007, v72
	v_or_b32_e32 v0, 0x64006400, v0
	v_pk_fma_f16 v93, v3, v1, v61
	v_and_b32_e32 v1, 0x380038, v72
	v_pk_add_f16 v69, v33, v0 op_sel_hi:[0,1]
	v_and_b32_e32 v0, 0x70007, v71
	ds_read2_b32 v[88:89], v11 offset0:2 offset1:3
	ds_read2_b32 v[90:91], v11 offset0:4 offset1:5
	ds_read2_b32 v[96:97], v11 offset0:6 offset1:7
	v_or_b32_e32 v1, 0x64006400, v1
	v_or_b32_e32 v0, 0x64006400, v0
	v_pk_fma_f16 v70, v1, s36, v43 op_sel_hi:[1,0,0]
	v_and_b32_e32 v1, 0x380038, v71
	v_pk_add_f16 v63, v32, v0 op_sel_hi:[0,1]
	v_and_b32_e32 v0, 0x70007, v84
	v_or_b32_e32 v1, 0x64006400, v1
	v_or_b32_e32 v0, 0x64006400, v0
	v_pk_fma_f16 v64, v1, s36, v50 op_sel_hi:[1,0,0]
	v_and_b32_e32 v1, 0x380038, v84
	v_pk_add_f16 v61, v31, v0 op_sel_hi:[0,1]
	v_and_b32_e32 v0, 0x70007, v83
	s_waitcnt lgkmcnt(2)
	v_pk_fma_f16 v82, v69, v88, v82
	v_or_b32_e32 v1, 0x64006400, v1
	v_or_b32_e32 v0, 0x64006400, v0
	v_pk_fma_f16 v95, v70, v89, v82
	v_pk_fma_f16 v82, v63, v88, v92
	v_pk_fma_f16 v62, v1, s36, v51 op_sel_hi:[1,0,0]
	v_pk_add_f16 v0, v30, v0 op_sel_hi:[0,1]
	v_pk_fma_f16 v98, v64, v89, v82
	v_pk_fma_f16 v82, v61, v88, v93
	;; [unrolled: 1-line block ×4, first 2 shown]
	v_sub_f16_e32 v94, 0xcc00, v65
	v_and_b32_e32 v65, 0x1c001c0, v72
	v_or_b32_e32 v65, 0x64006400, v65
	v_sub_f16_e32 v93, 0xcc00, v66
	v_or_b32_e32 v66, 0x64006400, v81
	v_pk_fma_f16 v81, v65, s37, v94 op_sel_hi:[1,0,0]
	v_and_b32_e32 v65, 0x1c001c0, v71
	v_and_b32_e32 v1, 0x380038, v83
	v_or_b32_e32 v65, 0x64006400, v65
	v_or_b32_e32 v1, 0x64006400, v1
	v_pk_fma_f16 v71, v65, s37, v93 op_sel_hi:[1,0,0]
	v_and_b32_e32 v65, 0x1c001c0, v84
	v_pk_fma_f16 v1, v1, s36, v60 op_sel_hi:[1,0,0]
	v_sub_f16_e32 v92, 0xcc00, v67
	v_or_b32_e32 v65, 0x64006400, v65
	v_pk_fma_f16 v88, v1, v89, v82
	v_pk_add_f16 v82, v33, v66 op_sel_hi:[0,1]
	v_or_b32_e32 v66, 0x64006400, v87
	v_pk_fma_f16 v67, v65, s37, v92 op_sel_hi:[1,0,0]
	v_and_b32_e32 v65, 0x1c001c0, v83
	s_waitcnt lgkmcnt(1)
	v_pk_fma_f16 v83, v81, v90, v95
	v_sub_f16_e32 v89, 0xcc00, v68
	v_pk_add_f16 v72, v32, v66 op_sel_hi:[0,1]
	v_or_b32_e32 v66, 0x64006400, v86
	v_or_b32_e32 v65, 0x64006400, v65
	v_pk_fma_f16 v87, v82, v91, v83
	v_pk_fma_f16 v83, v71, v90, v98
	v_pk_add_f16 v68, v31, v66 op_sel_hi:[0,1]
	v_or_b32_e32 v66, 0x64006400, v85
	v_pk_fma_f16 v65, v65, s37, v89 op_sel_hi:[1,0,0]
	v_pk_fma_f16 v95, v72, v91, v83
	v_pk_fma_f16 v83, v67, v90, v99
	v_pk_add_f16 v66, v30, v66 op_sel_hi:[0,1]
	v_pk_fma_f16 v98, v68, v91, v83
	v_pk_fma_f16 v83, v65, v90, v88
	;; [unrolled: 1-line block ×3, first 2 shown]
	v_or_b32_e32 v76, 0x64006400, v76
	v_and_b32_e32 v83, 0x70007, v80
	v_or_b32_e32 v83, 0x64006400, v83
	v_pk_fma_f16 v86, v76, s36, v43 op_sel_hi:[1,0,0]
	v_or_b32_e32 v75, 0x64006400, v75
	v_and_b32_e32 v76, 0x70007, v79
	v_pk_add_f16 v85, v33, v83 op_sel_hi:[0,1]
	v_or_b32_e32 v76, 0x64006400, v76
	v_pk_fma_f16 v83, v75, s36, v50 op_sel_hi:[1,0,0]
	v_or_b32_e32 v74, 0x64006400, v74
	v_and_b32_e32 v75, 0x70007, v78
	s_waitcnt lgkmcnt(0)
	v_pk_fma_f16 v87, v86, v96, v87
	v_pk_add_f16 v84, v32, v76 op_sel_hi:[0,1]
	v_or_b32_e32 v76, 0x64006400, v75
	v_pk_fma_f16 v75, v74, s36, v51 op_sel_hi:[1,0,0]
	v_or_b32_e32 v73, 0x64006400, v73
	v_and_b32_e32 v74, 0x70007, v77
	v_pk_fma_f16 v104, v85, v97, v87
	v_pk_fma_f16 v87, v83, v96, v95
	v_pk_add_f16 v76, v31, v76 op_sel_hi:[0,1]
	v_or_b32_e32 v74, 0x64006400, v74
	v_pk_fma_f16 v73, v73, s36, v60 op_sel_hi:[1,0,0]
	v_pk_fma_f16 v95, v84, v97, v87
	v_pk_fma_f16 v87, v75, v96, v98
	v_pk_add_f16 v74, v30, v74 op_sel_hi:[0,1]
	v_pk_fma_f16 v105, v76, v97, v87
	v_pk_fma_f16 v87, v73, v96, v88
	v_pk_fma_f16 v106, v74, v97, v87
	v_and_b32_e32 v87, 0x380038, v80
	v_and_b32_e32 v80, 0x1c001c0, v80
	v_or_b32_e32 v80, 0x64006400, v80
	v_pk_fma_f16 v91, v80, s37, v94 op_sel_hi:[1,0,0]
	v_and_b32_e32 v80, 0x380038, v79
	v_and_b32_e32 v79, 0x1c001c0, v79
	v_or_b32_e32 v79, 0x64006400, v79
	v_pk_fma_f16 v88, v79, s37, v93 op_sel_hi:[1,0,0]
	v_and_b32_e32 v79, 0x380038, v78
	v_and_b32_e32 v78, 0x1c001c0, v78
	ds_read2_b32 v[96:97], v11 offset0:8 offset1:9
	v_or_b32_e32 v87, 0x64006400, v87
	v_or_b32_e32 v80, 0x64006400, v80
	;; [unrolled: 1-line block ×3, first 2 shown]
	v_pk_fma_f16 v90, v87, s36, v43 op_sel_hi:[1,0,0]
	v_pk_fma_f16 v87, v80, s36, v50 op_sel_hi:[1,0,0]
	;; [unrolled: 1-line block ×3, first 2 shown]
	v_and_b32_e32 v78, 0x380038, v77
	v_and_b32_e32 v77, 0x1c001c0, v77
	v_or_b32_e32 v79, 0x64006400, v79
	v_or_b32_e32 v78, 0x64006400, v78
	;; [unrolled: 1-line block ×3, first 2 shown]
	v_pk_fma_f16 v79, v79, s36, v51 op_sel_hi:[1,0,0]
	v_pk_fma_f16 v77, v78, s36, v60 op_sel_hi:[1,0,0]
	;; [unrolled: 1-line block ×3, first 2 shown]
	ds_read2_b32 v[98:99], v11 offset0:10 offset1:11
	ds_read2_b32 v[100:101], v11 offset0:12 offset1:13
	;; [unrolled: 1-line block ×3, first 2 shown]
	s_waitcnt lgkmcnt(3)
	v_pk_fma_f16 v104, v90, v96, v104
	v_pk_fma_f16 v95, v87, v96, v95
	v_pk_fma_f16 v105, v79, v96, v105
	v_pk_fma_f16 v96, v77, v96, v106
	v_or_b32_e32 v52, 0x64006400, v52
	v_or_b32_e32 v54, 0x64006400, v54
	;; [unrolled: 1-line block ×4, first 2 shown]
	v_pk_fma_f16 v104, v91, v97, v104
	v_pk_fma_f16 v95, v88, v97, v95
	;; [unrolled: 1-line block ×4, first 2 shown]
	v_pk_add_f16 v52, v33, v52 op_sel_hi:[0,1]
	v_pk_add_f16 v54, v32, v54 op_sel_hi:[0,1]
	;; [unrolled: 1-line block ×4, first 2 shown]
	s_waitcnt lgkmcnt(2)
	v_pk_fma_f16 v97, v52, v98, v104
	v_pk_fma_f16 v95, v54, v98, v95
	;; [unrolled: 1-line block ×4, first 2 shown]
	v_and_b32_e32 v98, 0x380038, v48
	v_or_b32_e32 v53, 0x64006400, v53
	v_or_b32_e32 v98, 0x64006400, v98
	v_pk_fma_f16 v53, v53, s36, v43 op_sel_hi:[1,0,0]
	v_pk_fma_f16 v43, v98, s36, v43 op_sel_hi:[1,0,0]
	v_and_b32_e32 v98, 0x380038, v46
	v_or_b32_e32 v55, 0x64006400, v55
	v_or_b32_e32 v98, 0x64006400, v98
	v_pk_fma_f16 v55, v55, s36, v50 op_sel_hi:[1,0,0]
	v_pk_fma_f16 v50, v98, s36, v50 op_sel_hi:[1,0,0]
	;; [unrolled: 5-line block ×3, first 2 shown]
	v_and_b32_e32 v98, 0x380038, v41
	v_or_b32_e32 v59, 0x64006400, v59
	v_or_b32_e32 v98, 0x64006400, v98
	v_and_b32_e32 v40, 0x20002, v40
	v_pk_fma_f16 v59, v59, s36, v60 op_sel_hi:[1,0,0]
	v_pk_fma_f16 v60, v98, s36, v60 op_sel_hi:[1,0,0]
	v_and_b32_e32 v98, 0x70007, v48
	v_and_or_b32 v36, v36, s35, v40
	v_and_b32_e32 v40, 0x40004, v49
	v_or_b32_e32 v98, 0x64006400, v98
	v_or3_b32 v36, v36, v40, s34
	v_pk_add_f16 v98, v33, v98 op_sel_hi:[0,1]
	v_pk_add_f16 v49, v33, v36 op_sel_hi:[0,1]
	v_and_b32_e32 v33, 0x20002, v39
	v_pk_fma_f16 v97, v53, v99, v97
	v_pk_fma_f16 v95, v55, v99, v95
	;; [unrolled: 1-line block ×4, first 2 shown]
	v_and_b32_e32 v99, 0x70007, v46
	v_and_or_b32 v33, v35, s35, v33
	v_and_b32_e32 v35, 0x40004, v47
	v_or_b32_e32 v99, 0x64006400, v99
	v_or3_b32 v33, v33, v35, s34
	v_pk_add_f16 v99, v32, v99 op_sel_hi:[0,1]
	v_pk_add_f16 v47, v32, v33 op_sel_hi:[0,1]
	v_and_b32_e32 v32, 0x20002, v38
	v_and_b32_e32 v105, 0x70007, v44
	v_and_or_b32 v32, v34, s35, v32
	v_and_b32_e32 v33, 0x40004, v45
	v_or_b32_e32 v105, 0x64006400, v105
	v_or3_b32 v32, v32, v33, s34
	v_pk_add_f16 v105, v31, v105 op_sel_hi:[0,1]
	v_pk_add_f16 v45, v31, v32 op_sel_hi:[0,1]
	v_and_b32_e32 v31, 0x20002, v37
	v_and_b32_e32 v106, 0x70007, v41
	v_and_b32_e32 v40, 0x1c001c0, v48
	v_and_b32_e32 v35, 0x1c001c0, v46
	v_and_or_b32 v10, v10, s35, v31
	v_and_b32_e32 v31, 0x40004, v42
	v_or_b32_e32 v106, 0x64006400, v106
	s_waitcnt lgkmcnt(1)
	v_pk_fma_f16 v97, v98, v100, v97
	v_pk_fma_f16 v95, v99, v100, v95
	v_or_b32_e32 v40, 0x64006400, v40
	v_or_b32_e32 v35, 0x64006400, v35
	v_or3_b32 v10, v10, v31, s34
	v_and_b32_e32 v31, 0x1c001c0, v41
	v_pk_add_f16 v106, v30, v106 op_sel_hi:[0,1]
	v_pk_fma_f16 v97, v43, v101, v97
	v_pk_fma_f16 v95, v50, v101, v95
	v_pk_fma_f16 v48, v40, s37, v94 op_sel_hi:[1,0,0]
	v_pk_fma_f16 v46, v35, s37, v93 op_sel_hi:[1,0,0]
	v_and_b32_e32 v33, 0x1c001c0, v44
	v_or_b32_e32 v31, 0x64006400, v31
	v_pk_fma_f16 v104, v105, v100, v104
	v_pk_fma_f16 v96, v106, v100, v96
	v_or_b32_e32 v33, 0x64006400, v33
	v_pk_fma_f16 v42, v31, s37, v89 op_sel_hi:[1,0,0]
	v_pk_add_f16 v89, v30, v10 op_sel_hi:[0,1]
	s_waitcnt lgkmcnt(0)
	v_pk_fma_f16 v10, v48, v102, v97
	v_pk_fma_f16 v30, v46, v102, v95
	;; [unrolled: 1-line block ×4, first 2 shown]
	v_pk_fma_f16 v44, v33, s37, v92 op_sel_hi:[1,0,0]
	v_pk_fma_f16 v10, v49, v103, v10
	v_pk_fma_f16 v30, v47, v103, v30
	;; [unrolled: 1-line block ×4, first 2 shown]
	v_pack_b32_f16 v33, v10, v30
	v_perm_b32 v10, v30, v10, s38
	v_pk_fma_f16 v31, v45, v103, v31
	v_pk_fma_f16 v32, v89, v103, v32
	v_pk_add_f16 v10, v33, v10
	v_pk_fma_f16 v23, v10, v18, v23
	v_pack_b32_f16 v10, v31, v32
	v_perm_b32 v30, v32, v31, s38
	v_pk_add_f16 v10, v10, v30
	ds_read2_b32 v[30:31], v11 offset0:64 offset1:65
	ds_read2_b32 v[32:33], v11 offset0:66 offset1:67
	;; [unrolled: 1-line block ×4, first 2 shown]
	v_pk_fma_f16 v21, v10, v19, v21
	s_add_i32 s21, s21, 64
	s_cmp_ge_i32 s25, s26
	s_waitcnt lgkmcnt(3)
	v_pk_fma_f16 v8, v8, v30, 0
	v_pk_fma_f16 v8, v9, v31, v8
	s_waitcnt lgkmcnt(2)
	v_pk_fma_f16 v8, v69, v32, v8
	v_pk_fma_f16 v2, v2, v30, 0
	;; [unrolled: 1-line block ×5, first 2 shown]
	s_waitcnt lgkmcnt(1)
	v_pk_fma_f16 v8, v81, v34, v8
	v_pk_fma_f16 v4, v4, v30, 0
	;; [unrolled: 1-line block ×7, first 2 shown]
	s_waitcnt lgkmcnt(0)
	v_pk_fma_f16 v10, v86, v36, v8
	ds_read2_b32 v[8:9], v11 offset0:72 offset1:73
	v_pk_fma_f16 v4, v63, v32, v4
	v_pk_fma_f16 v2, v62, v33, v2
	;; [unrolled: 1-line block ×13, first 2 shown]
	ds_read2_b32 v[38:39], v11 offset0:74 offset1:75
	ds_read2_b32 v[40:41], v11 offset0:76 offset1:77
	;; [unrolled: 1-line block ×3, first 2 shown]
	v_pk_fma_f16 v4, v83, v36, v4
	v_pk_fma_f16 v2, v76, v37, v2
	v_pk_fma_f16 v0, v74, v37, v0
	v_pk_fma_f16 v4, v84, v37, v4
	s_waitcnt lgkmcnt(3)
	v_pk_fma_f16 v2, v79, v8, v2
	v_pk_fma_f16 v0, v77, v8, v0
	v_pk_fma_f16 v69, v90, v8, v69
	v_pk_fma_f16 v4, v87, v8, v4
	v_pk_fma_f16 v2, v80, v9, v2
	v_pk_fma_f16 v0, v78, v9, v0
	v_pk_fma_f16 v69, v91, v9, v69
	v_pk_fma_f16 v4, v88, v9, v4
	s_waitcnt lgkmcnt(2)
	v_pk_fma_f16 v2, v56, v38, v2
	v_pk_fma_f16 v0, v58, v38, v0
	v_pk_fma_f16 v52, v52, v38, v69
	v_pk_fma_f16 v4, v54, v38, v4
	;; [unrolled: 9-line block ×4, first 2 shown]
	v_pk_fma_f16 v2, v45, v11, v2
	v_pk_fma_f16 v0, v89, v11, v0
	;; [unrolled: 1-line block ×4, first 2 shown]
	v_pack_b32_f16 v1, v2, v0
	v_perm_b32 v0, v0, v2, s38
	v_pack_b32_f16 v7, v43, v4
	v_perm_b32 v4, v4, v43, s38
	v_pk_add_f16 v0, v1, v0
	v_pk_add_f16 v4, v7, v4
	v_pk_fma_f16 v13, v0, v19, v13
	v_mov_b32_e32 v0, s30
	v_pk_fma_f16 v20, v4, v18, v20
	v_addc_co_u32_e64 v17, s[6:7], v17, v0, s[6:7]
	s_cbranch_scc1 .LBB20_44
.LBB20_27:                              ; =>This Inner Loop Header: Depth=1
	s_cmp_lg_u32 s25, s29
	s_cbranch_scc1 .LBB20_26
; %bb.28:                               ;   in Loop: Header=BB20_27 Depth=1
	s_add_i32 s28, s28, 1
	s_mul_i32 s39, s28, s20
	s_ashr_i32 s6, s39, 31
	s_lshr_b32 s6, s6, 27
	s_add_i32 s6, s39, s6
	s_ashr_i32 s6, s6, 5
	v_mad_u64_u32 v[0:1], s[6:7], s6, 3, v[14:15]
	v_ashrrev_i32_e32 v1, 31, v0
	v_lshlrev_b64 v[0:1], 2, v[0:1]
	v_mov_b32_e32 v2, s15
	v_add_co_u32_e64 v0, s[6:7], s14, v0
	v_addc_co_u32_e64 v1, s[6:7], v2, v1, s[6:7]
	global_load_dword v3, v[0:1], off
                                        ; implicit-def: $vgpr2
	s_and_saveexec_b64 s[6:7], vcc
	s_xor_b64 s[6:7], exec, s[6:7]
	s_cbranch_execz .LBB20_42
; %bb.29:                               ;   in Loop: Header=BB20_27 Depth=1
                                        ; implicit-def: $vgpr2
	s_and_saveexec_b64 s[10:11], s[0:1]
	s_xor_b64 s[10:11], exec, s[10:11]
	s_cbranch_execz .LBB20_39
; %bb.30:                               ;   in Loop: Header=BB20_27 Depth=1
                                        ; implicit-def: $vgpr2
	s_and_saveexec_b64 s[12:13], s[2:3]
	;; [unrolled: 5-line block ×3, first 2 shown]
	s_xor_b64 s[22:23], exec, s[22:23]
	s_cbranch_execz .LBB20_33
; %bb.32:                               ;   in Loop: Header=BB20_27 Depth=1
	s_waitcnt vmcnt(0)
	v_lshrrev_b32_e32 v2, v24, v3
                                        ; implicit-def: $vgpr0_vgpr1
                                        ; implicit-def: $vgpr3
.LBB20_33:                              ;   in Loop: Header=BB20_27 Depth=1
	s_andn2_saveexec_b64 s[22:23], s[22:23]
	s_cbranch_execz .LBB20_35
; %bb.34:                               ;   in Loop: Header=BB20_27 Depth=1
	global_load_dword v0, v[0:1], off offset:4
	s_waitcnt vmcnt(0)
	v_alignbit_b32 v0, v0, v3, 28
	v_and_b32_e32 v2, 0xfff, v0
.LBB20_35:                              ;   in Loop: Header=BB20_27 Depth=1
	s_or_b64 exec, exec, s[22:23]
                                        ; implicit-def: $vgpr3
.LBB20_36:                              ;   in Loop: Header=BB20_27 Depth=1
	s_andn2_saveexec_b64 s[12:13], s[12:13]
	s_cbranch_execz .LBB20_38
; %bb.37:                               ;   in Loop: Header=BB20_27 Depth=1
	s_waitcnt vmcnt(0)
	v_lshrrev_b32_e32 v2, v25, v3
.LBB20_38:                              ;   in Loop: Header=BB20_27 Depth=1
	s_or_b64 exec, exec, s[12:13]
                                        ; implicit-def: $vgpr0_vgpr1
                                        ; implicit-def: $vgpr3
.LBB20_39:                              ;   in Loop: Header=BB20_27 Depth=1
	s_andn2_saveexec_b64 s[10:11], s[10:11]
	s_cbranch_execz .LBB20_41
; %bb.40:                               ;   in Loop: Header=BB20_27 Depth=1
	global_load_dword v0, v[0:1], off offset:4
	s_waitcnt vmcnt(0)
	v_perm_b32 v0, v3, v0, s33
	v_and_b32_e32 v2, 0xfff, v0
.LBB20_41:                              ;   in Loop: Header=BB20_27 Depth=1
	s_or_b64 exec, exec, s[10:11]
                                        ; implicit-def: $vgpr3
.LBB20_42:                              ;   in Loop: Header=BB20_27 Depth=1
	s_andn2_saveexec_b64 s[6:7], s[6:7]
	s_cbranch_execz .LBB20_25
; %bb.43:                               ;   in Loop: Header=BB20_27 Depth=1
	s_waitcnt vmcnt(0)
	v_lshrrev_b32_e32 v2, v15, v3
	s_branch .LBB20_25
.LBB20_44:
	s_mul_i32 s24, s24, s20
	v_add_u32_e32 v0, s24, v12
	v_ashrrev_i32_e32 v1, 31, v0
	v_lshlrev_b64 v[2:3], 1, v[0:1]
	v_mov_b32_e32 v1, s19
	v_add_co_u32_e32 v2, vcc, s18, v2
	v_addc_co_u32_e32 v3, vcc, v1, v3, vcc
	global_load_dword v5, v[2:3], off
	s_mov_b64 s[0:1], 0
.LBB20_45:                              ; =>This Inner Loop Header: Depth=1
	s_waitcnt vmcnt(0)
	v_pk_add_f16 v4, v23, v5
	global_atomic_cmpswap v1, v[2:3], v[4:5], off glc
	s_waitcnt vmcnt(0)
	v_cmp_eq_u32_e32 vcc, v5, v1
	s_or_b64 s[0:1], vcc, s[0:1]
	v_mov_b32_e32 v5, v1
	s_andn2_b64 exec, exec, s[0:1]
	s_cbranch_execnz .LBB20_45
; %bb.46:
	s_or_b64 exec, exec, s[0:1]
	global_load_dword v5, v[2:3], off offset:4
	s_mov_b64 s[0:1], 0
.LBB20_47:                              ; =>This Inner Loop Header: Depth=1
	s_waitcnt vmcnt(0)
	v_pk_add_f16 v4, v21, v5
	global_atomic_cmpswap v1, v[2:3], v[4:5], off offset:4 glc
	s_waitcnt vmcnt(0)
	v_cmp_eq_u32_e32 vcc, v5, v1
	s_or_b64 s[0:1], vcc, s[0:1]
	v_mov_b32_e32 v5, v1
	s_andn2_b64 exec, exec, s[0:1]
	s_cbranch_execnz .LBB20_47
; %bb.48:
	s_or_b64 exec, exec, s[0:1]
	v_add_u32_e32 v0, s20, v0
	v_ashrrev_i32_e32 v1, 31, v0
	v_lshlrev_b64 v[0:1], 1, v[0:1]
	v_mov_b32_e32 v2, s19
	v_add_co_u32_e32 v0, vcc, s18, v0
	v_addc_co_u32_e32 v1, vcc, v2, v1, vcc
	global_load_dword v3, v[0:1], off
	s_mov_b64 s[0:1], 0
.LBB20_49:                              ; =>This Inner Loop Header: Depth=1
	s_waitcnt vmcnt(0)
	v_pk_add_f16 v2, v20, v3
	global_atomic_cmpswap v2, v[0:1], v[2:3], off glc
	s_waitcnt vmcnt(0)
	v_cmp_eq_u32_e32 vcc, v3, v2
	s_or_b64 s[0:1], vcc, s[0:1]
	v_mov_b32_e32 v3, v2
	s_andn2_b64 exec, exec, s[0:1]
	s_cbranch_execnz .LBB20_49
; %bb.50:
	s_or_b64 exec, exec, s[0:1]
	global_load_dword v3, v[0:1], off offset:4
	s_mov_b64 s[0:1], 0
.LBB20_51:                              ; =>This Inner Loop Header: Depth=1
	s_waitcnt vmcnt(0)
	v_pk_add_f16 v2, v13, v3
	global_atomic_cmpswap v2, v[0:1], v[2:3], off offset:4 glc
	s_waitcnt vmcnt(0)
	v_cmp_eq_u32_e32 vcc, v3, v2
	s_or_b64 s[0:1], vcc, s[0:1]
	v_mov_b32_e32 v3, v2
	s_andn2_b64 exec, exec, s[0:1]
	s_cbranch_execnz .LBB20_51
.LBB20_52:
	s_endpgm
	.section	.rodata,"a",@progbits
	.p2align	6, 0x0
	.amdhsa_kernel _ZN4vllm4gptq33gemm_half_q_half_gptq_3bit_kernelILb1ELi2EEEvPK6__halfPKjS6_S4_PS2_iiiibPKi
		.amdhsa_group_segment_fixed_size 512
		.amdhsa_private_segment_fixed_size 0
		.amdhsa_kernarg_size 72
		.amdhsa_user_sgpr_count 6
		.amdhsa_user_sgpr_private_segment_buffer 1
		.amdhsa_user_sgpr_dispatch_ptr 0
		.amdhsa_user_sgpr_queue_ptr 0
		.amdhsa_user_sgpr_kernarg_segment_ptr 1
		.amdhsa_user_sgpr_dispatch_id 0
		.amdhsa_user_sgpr_flat_scratch_init 0
		.amdhsa_user_sgpr_kernarg_preload_length 0
		.amdhsa_user_sgpr_kernarg_preload_offset 0
		.amdhsa_user_sgpr_private_segment_size 0
		.amdhsa_uses_dynamic_stack 0
		.amdhsa_system_sgpr_private_segment_wavefront_offset 0
		.amdhsa_system_sgpr_workgroup_id_x 1
		.amdhsa_system_sgpr_workgroup_id_y 1
		.amdhsa_system_sgpr_workgroup_id_z 1
		.amdhsa_system_sgpr_workgroup_info 0
		.amdhsa_system_vgpr_workitem_id 0
		.amdhsa_next_free_vgpr 107
		.amdhsa_next_free_sgpr 40
		.amdhsa_accum_offset 108
		.amdhsa_reserve_vcc 1
		.amdhsa_reserve_flat_scratch 0
		.amdhsa_float_round_mode_32 0
		.amdhsa_float_round_mode_16_64 0
		.amdhsa_float_denorm_mode_32 3
		.amdhsa_float_denorm_mode_16_64 3
		.amdhsa_dx10_clamp 1
		.amdhsa_ieee_mode 1
		.amdhsa_fp16_overflow 0
		.amdhsa_tg_split 0
		.amdhsa_exception_fp_ieee_invalid_op 0
		.amdhsa_exception_fp_denorm_src 0
		.amdhsa_exception_fp_ieee_div_zero 0
		.amdhsa_exception_fp_ieee_overflow 0
		.amdhsa_exception_fp_ieee_underflow 0
		.amdhsa_exception_fp_ieee_inexact 0
		.amdhsa_exception_int_div_zero 0
	.end_amdhsa_kernel
	.section	.text._ZN4vllm4gptq33gemm_half_q_half_gptq_3bit_kernelILb1ELi2EEEvPK6__halfPKjS6_S4_PS2_iiiibPKi,"axG",@progbits,_ZN4vllm4gptq33gemm_half_q_half_gptq_3bit_kernelILb1ELi2EEEvPK6__halfPKjS6_S4_PS2_iiiibPKi,comdat
.Lfunc_end20:
	.size	_ZN4vllm4gptq33gemm_half_q_half_gptq_3bit_kernelILb1ELi2EEEvPK6__halfPKjS6_S4_PS2_iiiibPKi, .Lfunc_end20-_ZN4vllm4gptq33gemm_half_q_half_gptq_3bit_kernelILb1ELi2EEEvPK6__halfPKjS6_S4_PS2_iiiibPKi
                                        ; -- End function
	.section	.AMDGPU.csdata,"",@progbits
; Kernel info:
; codeLenInByte = 5428
; NumSgprs: 44
; NumVgprs: 107
; NumAgprs: 0
; TotalNumVgprs: 107
; ScratchSize: 0
; MemoryBound: 0
; FloatMode: 240
; IeeeMode: 1
; LDSByteSize: 512 bytes/workgroup (compile time only)
; SGPRBlocks: 5
; VGPRBlocks: 13
; NumSGPRsForWavesPerEU: 44
; NumVGPRsForWavesPerEU: 107
; AccumOffset: 108
; Occupancy: 4
; WaveLimiterHint : 0
; COMPUTE_PGM_RSRC2:SCRATCH_EN: 0
; COMPUTE_PGM_RSRC2:USER_SGPR: 6
; COMPUTE_PGM_RSRC2:TRAP_HANDLER: 0
; COMPUTE_PGM_RSRC2:TGID_X_EN: 1
; COMPUTE_PGM_RSRC2:TGID_Y_EN: 1
; COMPUTE_PGM_RSRC2:TGID_Z_EN: 1
; COMPUTE_PGM_RSRC2:TIDIG_COMP_CNT: 0
; COMPUTE_PGM_RSRC3_GFX90A:ACCUM_OFFSET: 26
; COMPUTE_PGM_RSRC3_GFX90A:TG_SPLIT: 0
	.section	.text._ZN4vllm4gptq33gemm_half_q_half_gptq_4bit_kernelILb1ELi2EEEvPK6__halfPKjS6_S4_PS2_iiiibPKi,"axG",@progbits,_ZN4vllm4gptq33gemm_half_q_half_gptq_4bit_kernelILb1ELi2EEEvPK6__halfPKjS6_S4_PS2_iiiibPKi,comdat
	.protected	_ZN4vllm4gptq33gemm_half_q_half_gptq_4bit_kernelILb1ELi2EEEvPK6__halfPKjS6_S4_PS2_iiiibPKi ; -- Begin function _ZN4vllm4gptq33gemm_half_q_half_gptq_4bit_kernelILb1ELi2EEEvPK6__halfPKjS6_S4_PS2_iiiibPKi
	.globl	_ZN4vllm4gptq33gemm_half_q_half_gptq_4bit_kernelILb1ELi2EEEvPK6__halfPKjS6_S4_PS2_iiiibPKi
	.p2align	8
	.type	_ZN4vllm4gptq33gemm_half_q_half_gptq_4bit_kernelILb1ELi2EEEvPK6__halfPKjS6_S4_PS2_iiiibPKi,@function
_ZN4vllm4gptq33gemm_half_q_half_gptq_4bit_kernelILb1ELi2EEEvPK6__halfPKjS6_S4_PS2_iiiibPKi: ; @_ZN4vllm4gptq33gemm_half_q_half_gptq_4bit_kernelILb1ELi2EEEvPK6__halfPKjS6_S4_PS2_iiiibPKi
; %bb.0:
	s_load_dwordx8 s[12:19], s[4:5], 0x8
	s_load_dwordx4 s[0:3], s[4:5], 0x2c
	s_lshl_b32 s22, s8, 7
	s_add_i32 s8, s22, 0x80
	v_cvt_f64_u32_e32 v[2:3], s8
	s_lshl_b32 s7, s7, 1
	s_waitcnt lgkmcnt(0)
	v_cvt_f64_i32_e32 v[4:5], s1
	v_min_f64 v[2:3], v[2:3], v[4:5]
	v_cvt_i32_f64_e32 v1, v[2:3]
	v_add_u32_e32 v2, s22, v0
	v_readfirstlane_b32 s23, v1
	v_cmp_lt_u32_e32 vcc, v2, v1
	s_and_saveexec_b64 s[8:9], vcc
	s_cbranch_execz .LBB21_6
; %bb.1:
	s_load_dwordx2 s[20:21], s[4:5], 0x40
	s_load_dwordx2 s[10:11], s[4:5], 0x0
	v_mov_b32_e32 v3, 0
	v_lshlrev_b64 v[4:5], 2, v[2:3]
	v_pk_mov_b32 v[6:7], v[2:3], v[2:3] op_sel:[0,1]
	s_waitcnt lgkmcnt(0)
	s_cmp_lg_u64 s[20:21], 0
	v_mov_b32_e32 v1, s21
	v_add_co_u32_e32 v4, vcc, s20, v4
	s_cselect_b64 s[4:5], -1, 0
	s_cmp_eq_u64 s[20:21], 0
	v_addc_co_u32_e32 v5, vcc, v1, v5, vcc
	s_cbranch_scc1 .LBB21_3
; %bb.2:
	global_load_dword v6, v[4:5], off
	s_waitcnt vmcnt(0)
	v_ashrrev_i32_e32 v7, 31, v6
.LBB21_3:
	s_mul_i32 s20, s7, s1
	s_ashr_i32 s21, s20, 31
	s_lshl_b64 s[24:25], s[20:21], 1
	s_add_u32 s21, s10, s24
	s_addc_u32 s24, s11, s25
	v_lshlrev_b64 v[6:7], 1, v[6:7]
	v_mov_b32_e32 v1, s24
	v_add_co_u32_e32 v6, vcc, s21, v6
	v_addc_co_u32_e32 v7, vcc, v1, v7, vcc
	global_load_ushort v6, v[6:7], off
	v_lshlrev_b32_e32 v1, 1, v0
	s_andn2_b64 vcc, exec, s[4:5]
	s_waitcnt vmcnt(0)
	ds_write_b16 v1, v6
	s_cbranch_vccnz .LBB21_5
; %bb.4:
	global_load_dword v2, v[4:5], off
	s_waitcnt vmcnt(0)
	v_ashrrev_i32_e32 v3, 31, v2
.LBB21_5:
	s_add_i32 s4, s20, s1
	s_ashr_i32 s5, s4, 31
	s_lshl_b64 s[4:5], s[4:5], 1
	s_add_u32 s4, s10, s4
	s_addc_u32 s5, s11, s5
	v_lshlrev_b64 v[2:3], 1, v[2:3]
	v_mov_b32_e32 v4, s5
	v_add_co_u32_e32 v2, vcc, s4, v2
	v_addc_co_u32_e32 v3, vcc, v4, v3, vcc
	global_load_ushort v2, v[2:3], off
	s_waitcnt vmcnt(0)
	ds_write_b16 v1, v2 offset:256
.LBB21_6:
	s_or_b64 exec, exec, s[8:9]
	v_lshlrev_b32_e32 v1, 2, v0
	v_lshl_add_u32 v8, s6, 9, v1
	v_cmp_gt_i32_e32 vcc, s0, v8
	s_and_saveexec_b64 s[4:5], vcc
	s_cbranch_execz .LBB21_21
; %bb.7:
	s_abs_i32 s4, s2
	v_cvt_f32_u32_e32 v1, s4
	s_mov_b32 s6, 0
	v_mov_b32_e32 v10, 0
	v_mov_b32_e32 v9, 0
	v_rcp_iflag_f32_e32 v1, v1
	v_mov_b32_e32 v7, 0
	s_cmp_ge_i32 s22, s23
	v_mov_b32_e32 v6, 0
	v_mul_f32_e32 v1, 0x4f7ffffe, v1
	v_cvt_u32_f32_e32 v1, v1
	s_waitcnt lgkmcnt(0)
	s_barrier
	v_readfirstlane_b32 s5, v1
	s_cbranch_scc1 .LBB21_13
; %bb.8:
	s_sub_i32 s9, 0, s4
	s_mul_i32 s9, s9, s5
	s_mul_hi_u32 s9, s5, s9
	s_ashr_i32 s8, s1, 31
	s_abs_i32 s1, s1
	s_add_i32 s5, s5, s9
	s_ashr_i32 s2, s2, 31
	s_mul_hi_u32 s5, s1, s5
	s_xor_b32 s2, s8, s2
	s_mul_i32 s8, s5, s4
	s_sub_i32 s1, s1, s8
	s_add_i32 s8, s5, 1
	s_sub_i32 s9, s1, s4
	s_cmp_ge_u32 s1, s4
	s_cselect_b32 s5, s8, s5
	s_cselect_b32 s1, s9, s1
	s_add_i32 s8, s5, 1
	s_cmp_ge_u32 s1, s4
	s_cselect_b32 s1, s8, s5
	s_xor_b32 s1, s1, s2
	s_sub_i32 s8, s1, s2
	v_cvt_f32_u32_e32 v1, s8
	s_bitcmp1_b32 s3, 0
	s_cselect_b64 s[2:3], -1, 0
	s_sub_i32 s1, 0, s8
	v_rcp_iflag_f32_e32 v1, v1
	s_xor_b64 s[2:3], s[2:3], -1
	v_ashrrev_i32_e32 v9, 31, v8
	v_lshrrev_b32_e32 v2, 29, v9
	v_mul_f32_e32 v1, 0x4f7ffffe, v1
	v_cvt_u32_f32_e32 v1, v1
	v_add_u32_e32 v2, v8, v2
	v_ashrrev_i32_e32 v36, 3, v2
	s_mov_b32 s10, 0x5040100
	v_readfirstlane_b32 s4, v1
	s_mul_i32 s1, s1, s4
	s_mul_hi_u32 s1, s4, s1
	s_add_i32 s4, s4, s1
	s_mul_hi_u32 s1, s22, s4
	s_mul_i32 s4, s1, s8
	s_sub_i32 s4, s22, s4
	s_add_i32 s5, s1, 1
	s_sub_i32 s9, s4, s8
	s_cmp_ge_u32 s4, s8
	s_cselect_b32 s1, s5, s1
	s_cselect_b32 s4, s9, s4
	s_add_i32 s5, s1, 1
	s_cmp_ge_u32 s4, s8
	s_cselect_b32 s9, s5, s1
	s_mul_i32 s1, s9, s0
	s_ashr_i32 s4, s1, 31
	s_lshr_b32 s4, s4, 29
	v_add_u32_e32 v2, s1, v8
	s_add_i32 s1, s1, s4
	v_ashrrev_i32_e32 v3, 31, v2
	s_ashr_i32 s1, s1, 3
	v_lshlrev_b64 v[2:3], 1, v[2:3]
	v_add_u32_e32 v4, s1, v36
	v_mov_b32_e32 v1, s17
	v_add_co_u32_e32 v2, vcc, s16, v2
	v_ashrrev_i32_e32 v5, 31, v4
	v_addc_co_u32_e32 v3, vcc, v1, v3, vcc
	v_lshlrev_b64 v[4:5], 2, v[4:5]
	v_mov_b32_e32 v1, s15
	v_add_co_u32_e32 v4, vcc, s14, v4
	v_addc_co_u32_e32 v5, vcc, v1, v5, vcc
	global_load_dword v4, v[4:5], off
	s_lshr_b32 s1, s22, 3
	global_load_dwordx2 v[2:3], v[2:3], off
	v_lshlrev_b32_e32 v5, 4, v0
	v_lshlrev_b64 v[0:1], 2, v[8:9]
	v_cndmask_b32_e64 v9, 0, 1, s[2:3]
	s_mul_i32 s2, s1, s0
	s_ashr_i32 s3, s2, 31
	s_lshl_b64 s[2:3], s[2:3], 2
	s_add_u32 s20, s12, s2
	s_addc_u32 s2, s13, s3
	v_and_b32_e32 v37, 16, v5
	v_mov_b32_e32 v6, s2
	v_add_co_u32_e32 v12, vcc, s20, v0
	v_addc_co_u32_e32 v13, vcc, v6, v1, vcc
	v_mov_b32_e32 v10, 0
	s_ashr_i32 s1, s0, 31
	s_movk_i32 s11, 0x2c00
	v_mov_b32_e32 v11, v10
	v_mov_b32_e32 v14, v10
	;; [unrolled: 1-line block ×6, first 2 shown]
	s_add_i32 s12, s8, s22
	s_lshl_b64 s[2:3], s[0:1], 4
	s_lshl_b64 s[4:5], s[0:1], 2
	v_mov_b32_e32 v21, v10
	s_waitcnt vmcnt(1)
	v_lshrrev_b32_e32 v0, v5, v4
	v_bfe_u32 v1, v4, v37, 4
	s_waitcnt vmcnt(0)
	v_cvt_f32_f16_e32 v16, v2
	v_cvt_f32_f16_sdwa v17, v2 dst_sel:DWORD dst_unused:UNUSED_PAD src0_sel:WORD_1
	v_cvt_f32_f16_e32 v18, v3
	v_cvt_f32_f16_sdwa v19, v3 dst_sel:DWORD dst_unused:UNUSED_PAD src0_sel:WORD_1
	v_bfe_u32 v2, v0, 12, 4
	v_bfe_u32 v3, v0, 8, 4
	;; [unrolled: 1-line block ×3, first 2 shown]
	v_add_u32_e32 v1, v1, v9
	v_add_u32_e32 v2, v2, v9
	;; [unrolled: 1-line block ×4, first 2 shown]
	v_cvt_f32_ubyte0_e32 v4, v1
	v_or_b32_e32 v1, 0xffffe400, v1
	v_cvt_f32_ubyte0_e32 v5, v2
	v_or_b32_e32 v2, 0xffffe400, v2
	;; [unrolled: 2-line block ×3, first 2 shown]
	v_cvt_f32_ubyte0_e32 v7, v0
	v_cvt_f16_f32_e32 v4, v4
	v_perm_b32 v38, v1, v1, s10
	v_cvt_f16_f32_e32 v1, v5
	v_perm_b32 v41, v2, v2, s10
	;; [unrolled: 2-line block ×3, first 2 shown]
	v_cvt_f16_f32_e32 v3, v7
	v_or_b32_e32 v0, 0xffffe400, v0
	v_perm_b32 v39, v0, v0, s10
	v_sub_f16_e32 v0, 0xd400, v4
	v_sub_f16_e32 v1, 0xd400, v1
	;; [unrolled: 1-line block ×4, first 2 shown]
	v_pack_b32_f16 v42, v0, v0
	v_pack_b32_f16 v45, v1, v1
	;; [unrolled: 1-line block ×4, first 2 shown]
	s_branch .LBB21_10
.LBB21_9:                               ;   in Loop: Header=BB21_10 Depth=1
	global_load_dwordx4 v[0:3], v[12:13], off
	v_mov_b32_e32 v31, s5
	v_add_co_u32_e32 v24, vcc, s4, v12
	v_mov_b32_e32 v46, s6
	v_addc_co_u32_e32 v25, vcc, v13, v31, vcc
	ds_read2_b32 v[6:7], v46 offset1:1
	ds_read2_b32 v[4:5], v46 offset0:2 offset1:3
	ds_read2_b32 v[28:29], v46 offset0:4 offset1:5
	;; [unrolled: 1-line block ×3, first 2 shown]
	global_load_dwordx4 v[54:57], v[24:25], off
	v_add_co_u32_e32 v32, vcc, s4, v24
	v_addc_co_u32_e32 v33, vcc, v25, v31, vcc
	ds_read2_b32 v[34:35], v46 offset0:64 offset1:65
	v_add_co_u32_e32 v30, vcc, s4, v32
	v_addc_co_u32_e32 v31, vcc, v33, v31, vcc
	s_add_i32 s22, s22, 32
	s_add_i32 s6, s6, 64
	v_add_co_u32_e32 v12, vcc, s2, v12
	s_cmp_ge_i32 s22, s23
	s_waitcnt vmcnt(1)
	v_and_b32_e32 v24, 0xf000f, v0
	v_and_b32_e32 v25, 0xf000f0, v0
	v_lshrrev_b32_e32 v0, 8, v0
	v_and_b32_e32 v47, 0xf000f, v1
	v_and_b32_e32 v48, 0xf000f0, v1
	v_lshrrev_b32_e32 v1, 8, v1
	v_or_b32_e32 v24, 0x64006400, v24
	v_and_b32_e32 v53, 0xf000f, v0
	v_and_b32_e32 v0, 0xf000f0, v0
	v_or_b32_e32 v47, 0x64006400, v47
	v_and_b32_e32 v58, 0xf000f, v1
	v_and_b32_e32 v1, 0xf000f0, v1
	;; [unrolled: 1-line block ×4, first 2 shown]
	v_lshrrev_b32_e32 v2, 8, v2
	v_or_b32_e32 v25, 0x64006400, v25
	v_or_b32_e32 v48, 0x64006400, v48
	;; [unrolled: 1-line block ×3, first 2 shown]
	v_pk_add_f16 v61, v38, v24
	v_or_b32_e32 v1, 0x64006400, v1
	v_pk_add_f16 v47, v39, v47
	v_and_b32_e32 v51, 0xf000f, v3
	v_and_b32_e32 v52, 0xf000f0, v3
	v_lshrrev_b32_e32 v3, 8, v3
	v_or_b32_e32 v49, 0x64006400, v49
	v_and_b32_e32 v59, 0xf000f, v2
	v_or_b32_e32 v53, 0x64006400, v53
	v_pk_fma_f16 v62, v25, s11, v42 op_sel_hi:[1,0,1]
	v_or_b32_e32 v24, 0x64006400, v58
	v_pk_fma_f16 v58, v48, s11, v43 op_sel_hi:[1,0,1]
	v_pk_fma_f16 v65, v0, s11, v42 op_sel_hi:[1,0,1]
	;; [unrolled: 1-line block ×3, first 2 shown]
	s_waitcnt lgkmcnt(4)
	v_pk_fma_f16 v0, v61, v6, 0
	v_pk_fma_f16 v1, v47, v6, 0
	v_or_b32_e32 v51, 0x64006400, v51
	v_and_b32_e32 v60, 0xf000f, v3
	v_or_b32_e32 v25, 0x64006400, v59
	v_pk_add_f16 v59, v40, v49
	v_pk_add_f16 v49, v38, v53
	;; [unrolled: 1-line block ×3, first 2 shown]
	v_pk_fma_f16 v0, v62, v7, v0
	v_pk_fma_f16 v1, v58, v7, v1
	v_or_b32_e32 v50, 0x64006400, v50
	v_or_b32_e32 v52, 0x64006400, v52
	;; [unrolled: 1-line block ×3, first 2 shown]
	v_pk_add_f16 v60, v41, v51
	s_waitcnt lgkmcnt(3)
	v_pk_fma_f16 v0, v49, v4, v0
	v_pk_fma_f16 v1, v66, v4, v1
	v_and_b32_e32 v3, 0xf000f0, v3
	v_pk_fma_f16 v63, v50, s11, v44 op_sel_hi:[1,0,1]
	v_pk_fma_f16 v64, v52, s11, v45 op_sel_hi:[1,0,1]
	v_pk_fma_f16 v24, v59, v6, 0
	v_pk_fma_f16 v6, v60, v6, 0
	;; [unrolled: 1-line block ×4, first 2 shown]
	ds_read2_b32 v[0:1], v46 offset0:66 offset1:67
	v_or_b32_e32 v3, 0x64006400, v3
	v_pk_add_f16 v68, v40, v25
	v_pk_add_f16 v69, v41, v48
	v_pk_fma_f16 v24, v63, v7, v24
	v_pk_fma_f16 v6, v64, v7, v6
	v_pk_fma_f16 v3, v3, s11, v45 op_sel_hi:[1,0,1]
	v_pk_fma_f16 v7, v68, v4, v24
	ds_read2_b32 v[24:25], v46 offset0:68 offset1:69
	v_pk_fma_f16 v4, v69, v4, v6
	v_pk_fma_f16 v51, v3, v5, v4
	s_waitcnt lgkmcnt(2)
	v_pk_fma_f16 v4, v61, v34, 0
	v_pk_fma_f16 v4, v62, v35, v4
	s_waitcnt lgkmcnt(1)
	v_pk_fma_f16 v4, v49, v0, v4
	v_pk_fma_f16 v48, v65, v1, v4
	;; [unrolled: 1-line block ×5, first 2 shown]
	v_and_b32_e32 v2, 0xf000f0, v2
	v_pk_fma_f16 v49, v67, v1, v4
	v_pk_fma_f16 v4, v59, v34, 0
	v_or_b32_e32 v2, 0x64006400, v2
	v_pk_fma_f16 v4, v63, v35, v4
	v_pk_fma_f16 v2, v2, s11, v44 op_sel_hi:[1,0,1]
	v_pk_fma_f16 v4, v68, v0, v4
	v_pk_fma_f16 v50, v2, v5, v7
	;; [unrolled: 1-line block ×3, first 2 shown]
	global_load_dwordx4 v[4:7], v[32:33], off
	v_pk_fma_f16 v2, v60, v34, 0
	v_pk_fma_f16 v2, v64, v35, v2
	;; [unrolled: 1-line block ×4, first 2 shown]
	s_waitcnt vmcnt(1)
	v_and_b32_e32 v3, 0xf000f, v55
	v_and_b32_e32 v32, 0xf000f0, v55
	v_and_b32_e32 v35, 0xf000f, v56
	v_or_b32_e32 v3, 0x64006400, v3
	v_and_b32_e32 v0, 0xf000f, v54
	v_and_b32_e32 v1, 0xf000f0, v54
	v_lshrrev_b32_e32 v2, 8, v54
	v_and_b32_e32 v58, 0xf000f0, v56
	v_and_b32_e32 v59, 0xf000f, v57
	v_or_b32_e32 v32, 0x64006400, v32
	v_pk_add_f16 v54, v39, v3
	v_or_b32_e32 v3, 0x64006400, v35
	v_lshrrev_b32_e32 v33, 8, v55
	v_lshrrev_b32_e32 v62, 8, v56
	v_and_b32_e32 v60, 0xf000f0, v57
	v_or_b32_e32 v0, 0x64006400, v0
	v_pk_fma_f16 v55, v32, s11, v43 op_sel_hi:[1,0,1]
	v_or_b32_e32 v32, 0x64006400, v58
	v_pk_add_f16 v56, v40, v3
	v_or_b32_e32 v3, 0x64006400, v59
	v_lshrrev_b32_e32 v64, 8, v57
	v_pk_add_f16 v0, v38, v0
	v_pk_fma_f16 v57, v32, s11, v44 op_sel_hi:[1,0,1]
	v_or_b32_e32 v32, 0x64006400, v60
	v_pk_add_f16 v58, v41, v3
	v_pk_fma_f16 v59, v32, s11, v45 op_sel_hi:[1,0,1]
	v_pk_fma_f16 v3, v0, v28, 0
	v_pk_fma_f16 v32, v54, v28, 0
	;; [unrolled: 1-line block ×5, first 2 shown]
	v_and_b32_e32 v28, 0xf000f, v2
	v_and_b32_e32 v2, 0xf000f0, v2
	v_or_b32_e32 v28, 0x64006400, v28
	v_or_b32_e32 v2, 0x64006400, v2
	;; [unrolled: 1-line block ×3, first 2 shown]
	v_pk_add_f16 v68, v38, v28
	v_pk_fma_f16 v28, v2, s11, v42 op_sel_hi:[1,0,1]
	v_and_b32_e32 v2, 0xf000f, v33
	v_pk_fma_f16 v1, v1, s11, v42 op_sel_hi:[1,0,1]
	v_or_b32_e32 v2, 0x64006400, v2
	v_pk_fma_f16 v3, v1, v29, v3
	v_pk_fma_f16 v32, v55, v29, v32
	;; [unrolled: 1-line block ×3, first 2 shown]
	v_and_b32_e32 v29, 0xf000f0, v33
	v_pk_add_f16 v60, v39, v2
	v_and_b32_e32 v2, 0xf000f, v62
	v_or_b32_e32 v29, 0x64006400, v29
	v_or_b32_e32 v2, 0x64006400, v2
	v_pk_fma_f16 v61, v29, s11, v43 op_sel_hi:[1,0,1]
	v_and_b32_e32 v29, 0xf000f0, v62
	v_pk_add_f16 v62, v40, v2
	v_and_b32_e32 v2, 0xf000f, v64
	v_or_b32_e32 v29, 0x64006400, v29
	v_or_b32_e32 v2, 0x64006400, v2
	v_pk_fma_f16 v63, v29, s11, v44 op_sel_hi:[1,0,1]
	v_and_b32_e32 v29, 0xf000f0, v64
	v_pk_add_f16 v64, v41, v2
	v_pk_fma_f16 v2, v68, v26, v3
	v_pk_fma_f16 v33, v28, v27, v2
	;; [unrolled: 1-line block ×3, first 2 shown]
	v_or_b32_e32 v29, 0x64006400, v29
	v_pk_fma_f16 v35, v61, v27, v2
	v_pk_fma_f16 v2, v62, v26, v66
	v_pk_fma_f16 v65, v29, s11, v45 op_sel_hi:[1,0,1]
	v_pk_fma_f16 v29, v63, v27, v2
	v_pk_fma_f16 v2, v64, v26, v67
	v_pk_fma_f16 v32, v65, v27, v2
	ds_read2_b32 v[26:27], v46 offset0:70 offset1:71
	s_waitcnt lgkmcnt(1)
	v_pk_fma_f16 v0, v0, v24, 0
	v_pk_fma_f16 v0, v1, v25, v0
	s_waitcnt lgkmcnt(0)
	v_pk_fma_f16 v66, v68, v26, v0
	global_load_dwordx4 v[0:3], v[30:31], off
	v_pk_fma_f16 v30, v28, v27, v66
	v_pk_fma_f16 v28, v54, v24, 0
	;; [unrolled: 1-line block ×13, first 2 shown]
	s_waitcnt vmcnt(1)
	v_and_b32_e32 v24, 0xf000f, v4
	v_and_b32_e32 v25, 0xf000f0, v4
	v_lshrrev_b32_e32 v27, 8, v4
	v_and_b32_e32 v4, 0xf000f, v5
	v_or_b32_e32 v4, 0x64006400, v4
	v_pk_add_f16 v56, v39, v4
	v_and_b32_e32 v4, 0xf000f, v6
	v_and_b32_e32 v54, 0xf000f0, v5
	v_lshrrev_b32_e32 v55, 8, v5
	v_or_b32_e32 v4, 0x64006400, v4
	v_and_b32_e32 v5, 0xf000f0, v6
	v_or_b32_e32 v5, 0x64006400, v5
	v_pk_add_f16 v58, v40, v4
	v_and_b32_e32 v4, 0xf000f, v7
	v_lshrrev_b32_e32 v57, 8, v6
	v_pk_fma_f16 v59, v5, s11, v44 op_sel_hi:[1,0,1]
	v_or_b32_e32 v6, 0x64006400, v4
	ds_read2_b32 v[4:5], v46 offset0:8 offset1:9
	v_or_b32_e32 v24, 0x64006400, v24
	v_or_b32_e32 v25, 0x64006400, v25
	v_pk_add_f16 v24, v38, v24
	v_pk_fma_f16 v25, v25, s11, v42 op_sel_hi:[1,0,1]
	v_or_b32_e32 v54, 0x64006400, v54
	v_and_b32_e32 v60, 0xf000f0, v7
	v_pk_add_f16 v62, v41, v6
	s_waitcnt lgkmcnt(0)
	v_pk_fma_f16 v6, v24, v4, 0
	v_pk_fma_f16 v54, v54, s11, v43 op_sel_hi:[1,0,1]
	v_or_b32_e32 v60, 0x64006400, v60
	v_pk_fma_f16 v63, v25, v5, v6
	v_pk_fma_f16 v6, v56, v4, 0
	v_pk_fma_f16 v60, v60, s11, v45 op_sel_hi:[1,0,1]
	v_pk_fma_f16 v64, v54, v5, v6
	v_pk_fma_f16 v6, v58, v4, 0
	;; [unrolled: 1-line block ×5, first 2 shown]
	ds_read2_b32 v[4:5], v46 offset0:72 offset1:73
	v_lshrrev_b32_e32 v61, 8, v7
	s_waitcnt lgkmcnt(0)
	v_pk_fma_f16 v6, v24, v4, 0
	v_pk_fma_f16 v24, v25, v5, v6
	;; [unrolled: 1-line block ×7, first 2 shown]
	v_and_b32_e32 v4, 0xf000f, v27
	v_or_b32_e32 v4, 0x64006400, v4
	v_pk_fma_f16 v54, v59, v5, v54
	v_and_b32_e32 v5, 0xf000f0, v27
	v_pk_add_f16 v27, v38, v4
	v_and_b32_e32 v4, 0xf000f, v55
	ds_read2_b32 v[6:7], v46 offset0:10 offset1:11
	v_or_b32_e32 v5, 0x64006400, v5
	v_or_b32_e32 v4, 0x64006400, v4
	v_pk_fma_f16 v56, v5, s11, v42 op_sel_hi:[1,0,1]
	v_and_b32_e32 v5, 0xf000f0, v55
	v_pk_add_f16 v59, v39, v4
	v_and_b32_e32 v4, 0xf000f, v57
	v_or_b32_e32 v5, 0x64006400, v5
	v_or_b32_e32 v4, 0x64006400, v4
	v_pk_fma_f16 v60, v5, s11, v43 op_sel_hi:[1,0,1]
	v_and_b32_e32 v5, 0xf000f0, v57
	v_pk_add_f16 v57, v40, v4
	v_and_b32_e32 v4, 0xf000f, v61
	v_or_b32_e32 v5, 0x64006400, v5
	v_or_b32_e32 v4, 0x64006400, v4
	v_pk_fma_f16 v62, v5, s11, v44 op_sel_hi:[1,0,1]
	v_and_b32_e32 v5, 0xf000f0, v61
	v_pk_add_f16 v61, v41, v4
	s_waitcnt lgkmcnt(0)
	v_pk_fma_f16 v4, v27, v6, v63
	v_pk_fma_f16 v63, v56, v7, v4
	;; [unrolled: 1-line block ×3, first 2 shown]
	v_or_b32_e32 v5, 0x64006400, v5
	v_pk_fma_f16 v64, v60, v7, v4
	v_pk_fma_f16 v4, v57, v6, v65
	v_pk_fma_f16 v67, v5, s11, v45 op_sel_hi:[1,0,1]
	v_pk_fma_f16 v69, v62, v7, v4
	v_pk_fma_f16 v4, v61, v6, v66
	;; [unrolled: 1-line block ×3, first 2 shown]
	ds_read2_b32 v[4:5], v46 offset0:74 offset1:75
	s_waitcnt vmcnt(0)
	v_lshrrev_b32_e32 v66, 8, v1
	v_and_b32_e32 v71, 0xf000f, v2
	v_and_b32_e32 v72, 0xf000f0, v2
	v_lshrrev_b32_e32 v73, 8, v2
	s_waitcnt lgkmcnt(0)
	v_pk_fma_f16 v6, v27, v4, v24
	v_pk_fma_f16 v55, v56, v5, v6
	;; [unrolled: 1-line block ×6, first 2 shown]
	v_and_b32_e32 v57, 0xf000f, v0
	v_and_b32_e32 v58, 0xf000f0, v0
	v_lshrrev_b32_e32 v59, 8, v0
	v_and_b32_e32 v60, 0xf000f, v1
	v_and_b32_e32 v61, 0xf000f0, v1
	;; [unrolled: 1-line block ×4, first 2 shown]
	v_lshrrev_b32_e32 v76, 8, v3
	v_cvt_f32_f16_e32 v1, v53
	v_cvt_f32_f16_e32 v0, v52
	v_cvt_f32_f16_sdwa v3, v53 dst_sel:DWORD dst_unused:UNUSED_PAD src0_sel:WORD_1
	v_cvt_f32_f16_sdwa v2, v52 dst_sel:DWORD dst_unused:UNUSED_PAD src0_sel:WORD_1
	v_pk_fma_f16 v27, v62, v5, v6
	v_pk_fma_f16 v54, v67, v5, v4
	v_cvt_f32_f16_sdwa v5, v35 dst_sel:DWORD dst_unused:UNUSED_PAD src0_sel:WORD_1
	v_pk_add_f32 v[0:1], v[0:1], v[2:3]
	v_cvt_f32_f16_e32 v3, v35
	v_cvt_f32_f16_e32 v2, v33
	v_cvt_f32_f16_sdwa v4, v33 dst_sel:DWORD dst_unused:UNUSED_PAD src0_sel:WORD_1
	v_cvt_f32_f16_sdwa v7, v64 dst_sel:DWORD dst_unused:UNUSED_PAD src0_sel:WORD_1
	;; [unrolled: 1-line block ×3, first 2 shown]
	ds_read2_b32 v[24:25], v46 offset0:12 offset1:13
	v_pk_add_f32 v[2:3], v[2:3], v[4:5]
	v_cvt_f32_f16_e32 v5, v64
	v_cvt_f32_f16_e32 v4, v63
	v_pk_fma_f32 v[0:1], v[0:1], v[16:17], v[20:21]
	v_pk_fma_f32 v[0:1], v[2:3], v[16:17], v[0:1]
	ds_read2_b32 v[2:3], v46 offset0:14 offset1:15
	v_pk_add_f32 v[4:5], v[4:5], v[6:7]
	v_pk_fma_f32 v[0:1], v[4:5], v[16:17], v[0:1]
	v_or_b32_e32 v4, 0x64006400, v57
	v_and_b32_e32 v6, 0xf000f, v59
	v_and_b32_e32 v7, 0xf000f0, v59
	v_or_b32_e32 v5, 0x64006400, v58
	v_or_b32_e32 v6, 0x64006400, v6
	;; [unrolled: 1-line block ×3, first 2 shown]
	v_pk_add_f16 v62, v38, v4
	v_or_b32_e32 v4, 0x64006400, v60
	v_pk_fma_f16 v63, v5, s11, v42 op_sel_hi:[1,0,1]
	v_pk_add_f16 v64, v38, v6
	v_pk_fma_f16 v65, v7, s11, v42 op_sel_hi:[1,0,1]
	v_and_b32_e32 v6, 0xf000f, v66
	v_and_b32_e32 v7, 0xf000f0, v66
	v_pk_add_f16 v66, v39, v4
	s_waitcnt lgkmcnt(1)
	v_pk_fma_f16 v4, v62, v24, 0
	v_pk_fma_f16 v4, v63, v25, v4
	v_or_b32_e32 v5, 0x64006400, v61
	v_or_b32_e32 v6, 0x64006400, v6
	s_waitcnt lgkmcnt(0)
	v_pk_fma_f16 v4, v64, v2, v4
	v_pk_fma_f16 v67, v5, s11, v43 op_sel_hi:[1,0,1]
	v_pk_add_f16 v68, v39, v6
	v_pk_fma_f16 v6, v65, v3, v4
	v_pk_fma_f16 v4, v66, v24, 0
	v_or_b32_e32 v7, 0x64006400, v7
	v_pk_fma_f16 v4, v67, v25, v4
	v_pk_fma_f16 v60, v7, s11, v43 op_sel_hi:[1,0,1]
	v_pk_fma_f16 v4, v68, v2, v4
	v_pk_fma_f16 v7, v60, v3, v4
	v_cvt_f32_f16_e32 v5, v7
	v_cvt_f32_f16_e32 v4, v6
	v_cvt_f32_f16_sdwa v7, v7 dst_sel:DWORD dst_unused:UNUSED_PAD src0_sel:WORD_1
	v_cvt_f32_f16_sdwa v6, v6 dst_sel:DWORD dst_unused:UNUSED_PAD src0_sel:WORD_1
	v_pk_add_f32 v[4:5], v[4:5], v[6:7]
	v_pk_fma_f32 v[20:21], v[4:5], v[16:17], v[0:1]
	v_or_b32_e32 v0, 0x64006400, v71
	v_and_b32_e32 v4, 0xf000f, v73
	v_or_b32_e32 v1, 0x64006400, v72
	v_pk_add_f16 v35, v40, v0
	v_or_b32_e32 v0, 0x64006400, v74
	v_or_b32_e32 v4, 0x64006400, v4
	v_and_b32_e32 v5, 0xf000f0, v73
	v_pk_fma_f16 v52, v1, s11, v44 op_sel_hi:[1,0,1]
	v_or_b32_e32 v1, 0x64006400, v75
	v_pk_add_f16 v53, v41, v0
	v_pk_fma_f16 v0, v35, v24, 0
	v_or_b32_e32 v5, 0x64006400, v5
	v_pk_add_f16 v58, v40, v4
	v_and_b32_e32 v4, 0xf000f, v76
	v_pk_fma_f16 v57, v1, s11, v45 op_sel_hi:[1,0,1]
	v_pk_fma_f16 v0, v52, v25, v0
	v_pk_fma_f16 v1, v53, v24, 0
	v_pk_fma_f16 v59, v5, s11, v44 op_sel_hi:[1,0,1]
	v_or_b32_e32 v4, 0x64006400, v4
	v_and_b32_e32 v5, 0xf000f0, v76
	v_pk_fma_f16 v1, v57, v25, v1
	v_or_b32_e32 v5, 0x64006400, v5
	v_pk_add_f16 v61, v41, v4
	v_pk_fma_f16 v0, v58, v2, v0
	v_pk_fma_f16 v33, v5, s11, v45 op_sel_hi:[1,0,1]
	v_pk_fma_f16 v24, v59, v3, v0
	v_pk_fma_f16 v0, v61, v2, v1
	;; [unrolled: 1-line block ×3, first 2 shown]
	v_cvt_f32_f16_e32 v1, v51
	v_cvt_f32_f16_e32 v0, v50
	v_cvt_f32_f16_sdwa v3, v51 dst_sel:DWORD dst_unused:UNUSED_PAD src0_sel:WORD_1
	v_cvt_f32_f16_sdwa v2, v50 dst_sel:DWORD dst_unused:UNUSED_PAD src0_sel:WORD_1
	;; [unrolled: 1-line block ×4, first 2 shown]
	v_cvt_f32_f16_e32 v7, v70
	v_pk_add_f32 v[0:1], v[0:1], v[2:3]
	v_cvt_f32_f16_e32 v3, v32
	v_cvt_f32_f16_e32 v2, v29
	v_pk_fma_f32 v[0:1], v[0:1], v[18:19], v[22:23]
	v_cvt_f32_f16_e32 v6, v69
	v_cvt_f32_f16_sdwa v23, v70 dst_sel:DWORD dst_unused:UNUSED_PAD src0_sel:WORD_1
	v_cvt_f32_f16_sdwa v22, v69 dst_sel:DWORD dst_unused:UNUSED_PAD src0_sel:WORD_1
	v_pk_add_f32 v[2:3], v[2:3], v[4:5]
	v_pk_fma_f32 v[0:1], v[2:3], v[18:19], v[0:1]
	v_cvt_f32_f16_e32 v3, v25
	v_cvt_f32_f16_e32 v2, v24
	v_cvt_f32_f16_sdwa v5, v25 dst_sel:DWORD dst_unused:UNUSED_PAD src0_sel:WORD_1
	v_cvt_f32_f16_sdwa v4, v24 dst_sel:DWORD dst_unused:UNUSED_PAD src0_sel:WORD_1
	ds_read2_b32 v[24:25], v46 offset0:76 offset1:77
	v_pk_add_f32 v[22:23], v[6:7], v[22:23]
	ds_read2_b32 v[6:7], v46 offset0:78 offset1:79
	v_pk_fma_f32 v[0:1], v[22:23], v[18:19], v[0:1]
	v_pk_add_f32 v[2:3], v[2:3], v[4:5]
	v_pk_fma_f32 v[22:23], v[2:3], v[18:19], v[0:1]
	s_waitcnt lgkmcnt(1)
	v_pk_fma_f16 v0, v62, v24, 0
	v_pk_fma_f16 v0, v63, v25, v0
	s_waitcnt lgkmcnt(0)
	v_pk_fma_f16 v0, v64, v6, v0
	v_pk_fma_f16 v29, v65, v7, v0
	;; [unrolled: 1-line block ×5, first 2 shown]
	v_cvt_f32_f16_e32 v1, v49
	v_cvt_f32_f16_e32 v0, v48
	v_cvt_f32_f16_sdwa v3, v49 dst_sel:DWORD dst_unused:UNUSED_PAD src0_sel:WORD_1
	v_cvt_f32_f16_sdwa v2, v48 dst_sel:DWORD dst_unused:UNUSED_PAD src0_sel:WORD_1
	v_cvt_f32_f16_e32 v5, v31
	v_cvt_f32_f16_e32 v4, v30
	v_cvt_f32_f16_sdwa v31, v31 dst_sel:DWORD dst_unused:UNUSED_PAD src0_sel:WORD_1
	v_cvt_f32_f16_sdwa v30, v30 dst_sel:DWORD dst_unused:UNUSED_PAD src0_sel:WORD_1
	v_pk_add_f32 v[0:1], v[0:1], v[2:3]
	v_pk_fma_f16 v32, v60, v7, v32
	v_pk_fma_f32 v[0:1], v[0:1], v[16:17], v[14:15]
	v_pk_add_f32 v[2:3], v[4:5], v[30:31]
	v_cvt_f32_f16_e32 v5, v56
	v_cvt_f32_f16_e32 v4, v55
	v_cvt_f32_f16_sdwa v15, v56 dst_sel:DWORD dst_unused:UNUSED_PAD src0_sel:WORD_1
	v_cvt_f32_f16_sdwa v14, v55 dst_sel:DWORD dst_unused:UNUSED_PAD src0_sel:WORD_1
	v_cvt_f32_f16_e32 v31, v32
	v_cvt_f32_f16_e32 v30, v29
	v_cvt_f32_f16_sdwa v49, v32 dst_sel:DWORD dst_unused:UNUSED_PAD src0_sel:WORD_1
	v_cvt_f32_f16_sdwa v48, v29 dst_sel:DWORD dst_unused:UNUSED_PAD src0_sel:WORD_1
	v_pk_fma_f32 v[0:1], v[2:3], v[16:17], v[0:1]
	v_pk_add_f32 v[2:3], v[4:5], v[14:15]
	v_pk_fma_f32 v[0:1], v[2:3], v[16:17], v[0:1]
	v_pk_add_f32 v[2:3], v[30:31], v[48:49]
	v_pk_fma_f32 v[14:15], v[2:3], v[16:17], v[0:1]
	v_pk_fma_f16 v0, v35, v24, 0
	v_pk_fma_f16 v0, v52, v25, v0
	;; [unrolled: 1-line block ×7, first 2 shown]
	v_cvt_f32_f16_e32 v1, v34
	v_cvt_f32_f16_e32 v0, v47
	v_cvt_f32_f16_sdwa v3, v34 dst_sel:DWORD dst_unused:UNUSED_PAD src0_sel:WORD_1
	v_cvt_f32_f16_sdwa v2, v47 dst_sel:DWORD dst_unused:UNUSED_PAD src0_sel:WORD_1
	v_cvt_f32_f16_e32 v5, v26
	v_cvt_f32_f16_e32 v4, v28
	v_cvt_f32_f16_sdwa v25, v26 dst_sel:DWORD dst_unused:UNUSED_PAD src0_sel:WORD_1
	v_cvt_f32_f16_sdwa v24, v28 dst_sel:DWORD dst_unused:UNUSED_PAD src0_sel:WORD_1
	v_pk_fma_f16 v26, v33, v7, v6
	v_pk_add_f32 v[0:1], v[0:1], v[2:3]
	v_cvt_f32_f16_sdwa v7, v54 dst_sel:DWORD dst_unused:UNUSED_PAD src0_sel:WORD_1
	v_pk_add_f32 v[2:3], v[4:5], v[24:25]
	v_cvt_f32_f16_e32 v5, v54
	v_cvt_f32_f16_e32 v4, v27
	v_cvt_f32_f16_sdwa v6, v27 dst_sel:DWORD dst_unused:UNUSED_PAD src0_sel:WORD_1
	v_pk_fma_f32 v[0:1], v[0:1], v[18:19], v[10:11]
	v_cvt_f32_f16_e32 v11, v26
	v_cvt_f32_f16_e32 v10, v29
	v_cvt_f32_f16_sdwa v25, v26 dst_sel:DWORD dst_unused:UNUSED_PAD src0_sel:WORD_1
	v_cvt_f32_f16_sdwa v24, v29 dst_sel:DWORD dst_unused:UNUSED_PAD src0_sel:WORD_1
	v_pk_fma_f32 v[0:1], v[2:3], v[18:19], v[0:1]
	v_pk_add_f32 v[2:3], v[4:5], v[6:7]
	v_pk_fma_f32 v[0:1], v[2:3], v[18:19], v[0:1]
	v_pk_add_f32 v[2:3], v[10:11], v[24:25]
	v_pk_fma_f32 v[10:11], v[2:3], v[18:19], v[0:1]
	v_mov_b32_e32 v0, s3
	v_addc_co_u32_e32 v13, vcc, v13, v0, vcc
	s_cbranch_scc1 .LBB21_12
.LBB21_10:                              ; =>This Inner Loop Header: Depth=1
	s_cmp_lg_u32 s22, s12
	s_cbranch_scc1 .LBB21_9
; %bb.11:                               ;   in Loop: Header=BB21_10 Depth=1
	s_add_i32 s9, s9, 1
	s_mul_i32 s1, s9, s0
	s_ashr_i32 s13, s1, 31
	s_lshr_b32 s13, s13, 29
	s_add_i32 s13, s1, s13
	v_add_u32_e32 v2, s1, v8
	s_ashr_i32 s13, s13, 3
	v_ashrrev_i32_e32 v3, 31, v2
	v_add_u32_e32 v0, s13, v36
	v_lshlrev_b64 v[2:3], 1, v[2:3]
	v_ashrrev_i32_e32 v1, 31, v0
	v_mov_b32_e32 v5, s17
	v_add_co_u32_e32 v2, vcc, s16, v2
	v_lshlrev_b64 v[0:1], 2, v[0:1]
	v_addc_co_u32_e32 v3, vcc, v5, v3, vcc
	v_mov_b32_e32 v4, s15
	v_add_co_u32_e32 v0, vcc, s14, v0
	v_addc_co_u32_e32 v1, vcc, v4, v1, vcc
	global_load_dword v0, v[0:1], off
	s_add_i32 s12, s12, s8
	global_load_dwordx2 v[2:3], v[2:3], off
	s_waitcnt vmcnt(1)
	v_lshrrev_b32_e32 v1, v37, v0
	v_bfe_u32 v0, v0, v37, 4
	s_waitcnt vmcnt(0)
	v_cvt_f32_f16_e32 v16, v2
	v_cvt_f32_f16_sdwa v17, v2 dst_sel:DWORD dst_unused:UNUSED_PAD src0_sel:WORD_1
	v_cvt_f32_f16_e32 v18, v3
	v_cvt_f32_f16_sdwa v19, v3 dst_sel:DWORD dst_unused:UNUSED_PAD src0_sel:WORD_1
	v_bfe_u32 v2, v1, 4, 4
	v_bfe_u32 v3, v1, 8, 4
	;; [unrolled: 1-line block ×3, first 2 shown]
	v_add_u32_e32 v0, v0, v9
	v_or_b32_e32 v4, 0xffffe400, v0
	v_cvt_f32_ubyte0_e32 v0, v0
	v_add_u32_e32 v2, v2, v9
	v_add_u32_e32 v3, v3, v9
	;; [unrolled: 1-line block ×3, first 2 shown]
	v_cvt_f16_f32_e32 v0, v0
	v_perm_b32 v38, v4, v4, s10
	v_or_b32_e32 v4, 0xffffe400, v2
	v_cvt_f32_ubyte0_e32 v2, v2
	v_or_b32_e32 v5, 0xffffe400, v3
	v_cvt_f32_ubyte0_e32 v3, v3
	;; [unrolled: 2-line block ×3, first 2 shown]
	v_cvt_f16_f32_e32 v2, v2
	v_cvt_f16_f32_e32 v3, v3
	;; [unrolled: 1-line block ×3, first 2 shown]
	v_sub_f16_e32 v0, 0xd400, v0
	v_pack_b32_f16 v42, v0, v0
	v_sub_f16_e32 v0, 0xd400, v2
	v_sub_f16_e32 v2, 0xd400, v3
	v_sub_f16_e32 v1, 0xd400, v1
	v_perm_b32 v39, v4, v4, s10
	v_perm_b32 v40, v5, v5, s10
	v_perm_b32 v41, v6, v6, s10
	v_pack_b32_f16 v43, v0, v0
	v_pack_b32_f16 v44, v2, v2
	;; [unrolled: 1-line block ×3, first 2 shown]
	s_branch .LBB21_9
.LBB21_12:
	v_cvt_f16_f32_e32 v0, v21
	v_cvt_f16_f32_e32 v1, v20
	;; [unrolled: 1-line block ×8, first 2 shown]
	v_pack_b32_f16 v10, v1, v0
	v_pack_b32_f16 v9, v3, v2
	;; [unrolled: 1-line block ×4, first 2 shown]
.LBB21_13:
	s_mul_i32 s7, s7, s0
	v_add_u32_e32 v0, s7, v8
	v_ashrrev_i32_e32 v1, 31, v0
	v_lshlrev_b64 v[2:3], 1, v[0:1]
	v_mov_b32_e32 v1, s19
	v_add_co_u32_e32 v2, vcc, s18, v2
	v_addc_co_u32_e32 v3, vcc, v1, v3, vcc
	global_load_dword v5, v[2:3], off
	s_mov_b64 s[2:3], 0
.LBB21_14:                              ; =>This Inner Loop Header: Depth=1
	s_waitcnt vmcnt(0)
	v_pk_add_f16 v4, v10, v5
	global_atomic_cmpswap v1, v[2:3], v[4:5], off glc
	s_waitcnt vmcnt(0)
	v_cmp_eq_u32_e32 vcc, v5, v1
	s_or_b64 s[2:3], vcc, s[2:3]
	v_mov_b32_e32 v5, v1
	s_andn2_b64 exec, exec, s[2:3]
	s_cbranch_execnz .LBB21_14
; %bb.15:
	s_or_b64 exec, exec, s[2:3]
	global_load_dword v5, v[2:3], off offset:4
	s_mov_b64 s[2:3], 0
.LBB21_16:                              ; =>This Inner Loop Header: Depth=1
	s_waitcnt vmcnt(0)
	v_pk_add_f16 v4, v9, v5
	global_atomic_cmpswap v1, v[2:3], v[4:5], off offset:4 glc
	s_waitcnt vmcnt(0)
	v_cmp_eq_u32_e32 vcc, v5, v1
	s_or_b64 s[2:3], vcc, s[2:3]
	v_mov_b32_e32 v5, v1
	s_andn2_b64 exec, exec, s[2:3]
	s_cbranch_execnz .LBB21_16
; %bb.17:
	s_or_b64 exec, exec, s[2:3]
	v_add_u32_e32 v0, s0, v0
	v_ashrrev_i32_e32 v1, 31, v0
	v_lshlrev_b64 v[0:1], 1, v[0:1]
	v_mov_b32_e32 v2, s19
	v_add_co_u32_e32 v0, vcc, s18, v0
	v_addc_co_u32_e32 v1, vcc, v2, v1, vcc
	global_load_dword v3, v[0:1], off
	s_mov_b64 s[0:1], 0
.LBB21_18:                              ; =>This Inner Loop Header: Depth=1
	s_waitcnt vmcnt(0)
	v_pk_add_f16 v2, v7, v3
	global_atomic_cmpswap v2, v[0:1], v[2:3], off glc
	s_waitcnt vmcnt(0)
	v_cmp_eq_u32_e32 vcc, v3, v2
	s_or_b64 s[0:1], vcc, s[0:1]
	v_mov_b32_e32 v3, v2
	s_andn2_b64 exec, exec, s[0:1]
	s_cbranch_execnz .LBB21_18
; %bb.19:
	s_or_b64 exec, exec, s[0:1]
	global_load_dword v3, v[0:1], off offset:4
	s_mov_b64 s[0:1], 0
.LBB21_20:                              ; =>This Inner Loop Header: Depth=1
	s_waitcnt vmcnt(0)
	v_pk_add_f16 v2, v6, v3
	global_atomic_cmpswap v2, v[0:1], v[2:3], off offset:4 glc
	s_waitcnt vmcnt(0)
	v_cmp_eq_u32_e32 vcc, v3, v2
	s_or_b64 s[0:1], vcc, s[0:1]
	v_mov_b32_e32 v3, v2
	s_andn2_b64 exec, exec, s[0:1]
	s_cbranch_execnz .LBB21_20
.LBB21_21:
	s_endpgm
	.section	.rodata,"a",@progbits
	.p2align	6, 0x0
	.amdhsa_kernel _ZN4vllm4gptq33gemm_half_q_half_gptq_4bit_kernelILb1ELi2EEEvPK6__halfPKjS6_S4_PS2_iiiibPKi
		.amdhsa_group_segment_fixed_size 512
		.amdhsa_private_segment_fixed_size 0
		.amdhsa_kernarg_size 72
		.amdhsa_user_sgpr_count 6
		.amdhsa_user_sgpr_private_segment_buffer 1
		.amdhsa_user_sgpr_dispatch_ptr 0
		.amdhsa_user_sgpr_queue_ptr 0
		.amdhsa_user_sgpr_kernarg_segment_ptr 1
		.amdhsa_user_sgpr_dispatch_id 0
		.amdhsa_user_sgpr_flat_scratch_init 0
		.amdhsa_user_sgpr_kernarg_preload_length 0
		.amdhsa_user_sgpr_kernarg_preload_offset 0
		.amdhsa_user_sgpr_private_segment_size 0
		.amdhsa_uses_dynamic_stack 0
		.amdhsa_system_sgpr_private_segment_wavefront_offset 0
		.amdhsa_system_sgpr_workgroup_id_x 1
		.amdhsa_system_sgpr_workgroup_id_y 1
		.amdhsa_system_sgpr_workgroup_id_z 1
		.amdhsa_system_sgpr_workgroup_info 0
		.amdhsa_system_vgpr_workitem_id 0
		.amdhsa_next_free_vgpr 77
		.amdhsa_next_free_sgpr 26
		.amdhsa_accum_offset 80
		.amdhsa_reserve_vcc 1
		.amdhsa_reserve_flat_scratch 0
		.amdhsa_float_round_mode_32 0
		.amdhsa_float_round_mode_16_64 0
		.amdhsa_float_denorm_mode_32 3
		.amdhsa_float_denorm_mode_16_64 3
		.amdhsa_dx10_clamp 1
		.amdhsa_ieee_mode 1
		.amdhsa_fp16_overflow 0
		.amdhsa_tg_split 0
		.amdhsa_exception_fp_ieee_invalid_op 0
		.amdhsa_exception_fp_denorm_src 0
		.amdhsa_exception_fp_ieee_div_zero 0
		.amdhsa_exception_fp_ieee_overflow 0
		.amdhsa_exception_fp_ieee_underflow 0
		.amdhsa_exception_fp_ieee_inexact 0
		.amdhsa_exception_int_div_zero 0
	.end_amdhsa_kernel
	.section	.text._ZN4vllm4gptq33gemm_half_q_half_gptq_4bit_kernelILb1ELi2EEEvPK6__halfPKjS6_S4_PS2_iiiibPKi,"axG",@progbits,_ZN4vllm4gptq33gemm_half_q_half_gptq_4bit_kernelILb1ELi2EEEvPK6__halfPKjS6_S4_PS2_iiiibPKi,comdat
.Lfunc_end21:
	.size	_ZN4vllm4gptq33gemm_half_q_half_gptq_4bit_kernelILb1ELi2EEEvPK6__halfPKjS6_S4_PS2_iiiibPKi, .Lfunc_end21-_ZN4vllm4gptq33gemm_half_q_half_gptq_4bit_kernelILb1ELi2EEEvPK6__halfPKjS6_S4_PS2_iiiibPKi
                                        ; -- End function
	.section	.AMDGPU.csdata,"",@progbits
; Kernel info:
; codeLenInByte = 5332
; NumSgprs: 30
; NumVgprs: 77
; NumAgprs: 0
; TotalNumVgprs: 77
; ScratchSize: 0
; MemoryBound: 0
; FloatMode: 240
; IeeeMode: 1
; LDSByteSize: 512 bytes/workgroup (compile time only)
; SGPRBlocks: 3
; VGPRBlocks: 9
; NumSGPRsForWavesPerEU: 30
; NumVGPRsForWavesPerEU: 77
; AccumOffset: 80
; Occupancy: 6
; WaveLimiterHint : 0
; COMPUTE_PGM_RSRC2:SCRATCH_EN: 0
; COMPUTE_PGM_RSRC2:USER_SGPR: 6
; COMPUTE_PGM_RSRC2:TRAP_HANDLER: 0
; COMPUTE_PGM_RSRC2:TGID_X_EN: 1
; COMPUTE_PGM_RSRC2:TGID_Y_EN: 1
; COMPUTE_PGM_RSRC2:TGID_Z_EN: 1
; COMPUTE_PGM_RSRC2:TIDIG_COMP_CNT: 0
; COMPUTE_PGM_RSRC3_GFX90A:ACCUM_OFFSET: 19
; COMPUTE_PGM_RSRC3_GFX90A:TG_SPLIT: 0
	.section	.text._ZN4vllm4gptq33gemm_half_q_half_gptq_8bit_kernelILb1ELi2EEEvPK6__halfPKjS6_S4_PS2_iiiibPKi,"axG",@progbits,_ZN4vllm4gptq33gemm_half_q_half_gptq_8bit_kernelILb1ELi2EEEvPK6__halfPKjS6_S4_PS2_iiiibPKi,comdat
	.protected	_ZN4vllm4gptq33gemm_half_q_half_gptq_8bit_kernelILb1ELi2EEEvPK6__halfPKjS6_S4_PS2_iiiibPKi ; -- Begin function _ZN4vllm4gptq33gemm_half_q_half_gptq_8bit_kernelILb1ELi2EEEvPK6__halfPKjS6_S4_PS2_iiiibPKi
	.globl	_ZN4vllm4gptq33gemm_half_q_half_gptq_8bit_kernelILb1ELi2EEEvPK6__halfPKjS6_S4_PS2_iiiibPKi
	.p2align	8
	.type	_ZN4vllm4gptq33gemm_half_q_half_gptq_8bit_kernelILb1ELi2EEEvPK6__halfPKjS6_S4_PS2_iiiibPKi,@function
_ZN4vllm4gptq33gemm_half_q_half_gptq_8bit_kernelILb1ELi2EEEvPK6__halfPKjS6_S4_PS2_iiiibPKi: ; @_ZN4vllm4gptq33gemm_half_q_half_gptq_8bit_kernelILb1ELi2EEEvPK6__halfPKjS6_S4_PS2_iiiibPKi
; %bb.0:
	s_load_dwordx8 s[12:19], s[4:5], 0x8
	s_load_dwordx4 s[0:3], s[4:5], 0x2c
	s_lshl_b32 s22, s8, 7
	s_add_i32 s8, s22, 0x80
	v_cvt_f64_u32_e32 v[2:3], s8
	s_lshl_b32 s7, s7, 1
	s_waitcnt lgkmcnt(0)
	v_cvt_f64_i32_e32 v[4:5], s1
	v_min_f64 v[2:3], v[2:3], v[4:5]
	v_cvt_i32_f64_e32 v1, v[2:3]
	v_add_u32_e32 v2, s22, v0
	v_readfirstlane_b32 s23, v1
	v_cmp_lt_u32_e32 vcc, v2, v1
	s_and_saveexec_b64 s[8:9], vcc
	s_cbranch_execz .LBB22_6
; %bb.1:
	s_load_dwordx2 s[20:21], s[4:5], 0x40
	s_load_dwordx2 s[10:11], s[4:5], 0x0
	v_mov_b32_e32 v3, 0
	v_lshlrev_b64 v[4:5], 2, v[2:3]
	v_pk_mov_b32 v[6:7], v[2:3], v[2:3] op_sel:[0,1]
	s_waitcnt lgkmcnt(0)
	s_cmp_lg_u64 s[20:21], 0
	v_mov_b32_e32 v1, s21
	v_add_co_u32_e32 v4, vcc, s20, v4
	s_cselect_b64 s[4:5], -1, 0
	s_cmp_eq_u64 s[20:21], 0
	v_addc_co_u32_e32 v5, vcc, v1, v5, vcc
	s_cbranch_scc1 .LBB22_3
; %bb.2:
	global_load_dword v6, v[4:5], off
	s_waitcnt vmcnt(0)
	v_ashrrev_i32_e32 v7, 31, v6
.LBB22_3:
	s_mul_i32 s20, s7, s1
	s_ashr_i32 s21, s20, 31
	s_lshl_b64 s[24:25], s[20:21], 1
	s_add_u32 s21, s10, s24
	s_addc_u32 s24, s11, s25
	v_lshlrev_b64 v[6:7], 1, v[6:7]
	v_mov_b32_e32 v1, s24
	v_add_co_u32_e32 v6, vcc, s21, v6
	v_addc_co_u32_e32 v7, vcc, v1, v7, vcc
	global_load_ushort v6, v[6:7], off
	v_lshlrev_b32_e32 v1, 1, v0
	s_andn2_b64 vcc, exec, s[4:5]
	s_waitcnt vmcnt(0)
	ds_write_b16 v1, v6
	s_cbranch_vccnz .LBB22_5
; %bb.4:
	global_load_dword v2, v[4:5], off
	s_waitcnt vmcnt(0)
	v_ashrrev_i32_e32 v3, 31, v2
.LBB22_5:
	s_add_i32 s4, s20, s1
	s_ashr_i32 s5, s4, 31
	s_lshl_b64 s[4:5], s[4:5], 1
	s_add_u32 s4, s10, s4
	s_addc_u32 s5, s11, s5
	v_lshlrev_b64 v[2:3], 1, v[2:3]
	v_mov_b32_e32 v4, s5
	v_add_co_u32_e32 v2, vcc, s4, v2
	v_addc_co_u32_e32 v3, vcc, v4, v3, vcc
	global_load_ushort v2, v[2:3], off
	s_waitcnt vmcnt(0)
	ds_write_b16 v1, v2 offset:256
.LBB22_6:
	s_or_b64 exec, exec, s[8:9]
	v_lshlrev_b32_e32 v0, 2, v0
	v_lshl_add_u32 v52, s6, 9, v0
	v_cmp_gt_i32_e32 vcc, s0, v52
	s_and_saveexec_b64 s[4:5], vcc
	s_cbranch_execz .LBB22_20
; %bb.7:
	s_abs_i32 s5, s2
	v_cvt_f32_u32_e32 v0, s5
	s_mov_b32 s4, 0
	v_mov_b32_e32 v84, 0
	v_mov_b32_e32 v75, 0
	v_rcp_iflag_f32_e32 v0, v0
	v_mov_b32_e32 v74, 0
	s_cmp_ge_i32 s22, s23
	v_mov_b32_e32 v53, 0
	v_mul_f32_e32 v0, 0x4f7ffffe, v0
	v_cvt_u32_f32_e32 v0, v0
	s_waitcnt lgkmcnt(0)
	s_barrier
	v_readfirstlane_b32 s6, v0
	s_cbranch_scc1 .LBB22_12
; %bb.8:
	s_sub_i32 s9, 0, s5
	s_mul_i32 s9, s9, s6
	s_mul_hi_u32 s9, s6, s9
	s_ashr_i32 s8, s1, 31
	s_abs_i32 s1, s1
	s_add_i32 s6, s6, s9
	s_ashr_i32 s2, s2, 31
	s_mul_hi_u32 s6, s1, s6
	s_xor_b32 s2, s8, s2
	s_mul_i32 s8, s6, s5
	s_sub_i32 s1, s1, s8
	s_add_i32 s8, s6, 1
	s_sub_i32 s9, s1, s5
	s_cmp_ge_u32 s1, s5
	s_cselect_b32 s6, s8, s6
	s_cselect_b32 s1, s9, s1
	s_add_i32 s8, s6, 1
	s_cmp_ge_u32 s1, s5
	s_cselect_b32 s1, s8, s6
	s_xor_b32 s1, s1, s2
	s_sub_i32 s5, s1, s2
	v_cvt_f32_u32_e32 v0, s5
	s_bitcmp1_b32 s3, 0
	s_cselect_b64 s[2:3], -1, 0
	s_sub_i32 s1, 0, s5
	v_rcp_iflag_f32_e32 v0, v0
	s_xor_b64 s[2:3], s[2:3], -1
	v_ashrrev_i32_e32 v72, 2, v52
	v_mov_b32_e32 v2, s15
	v_mul_f32_e32 v0, 0x4f7ffffe, v0
	v_cvt_u32_f32_e32 v0, v0
	v_mov_b32_e32 v4, s17
	v_cndmask_b32_e64 v73, 0, 1, s[2:3]
	v_ashrrev_i32_e32 v53, 31, v52
	v_readfirstlane_b32 s6, v0
	s_mul_i32 s1, s1, s6
	s_mul_hi_u32 s1, s6, s1
	s_add_i32 s6, s6, s1
	s_mul_hi_u32 s1, s22, s6
	s_mul_i32 s6, s1, s5
	s_sub_i32 s6, s22, s6
	s_add_i32 s8, s1, 1
	s_sub_i32 s9, s6, s5
	s_cmp_ge_u32 s6, s5
	s_cselect_b32 s1, s8, s1
	s_cselect_b32 s6, s9, s6
	s_add_i32 s8, s1, 1
	s_cmp_ge_u32 s6, s5
	s_cselect_b32 s6, s8, s1
	s_mul_i32 s1, s6, s0
	s_ashr_i32 s8, s1, 31
	s_lshr_b32 s8, s8, 30
	s_add_i32 s8, s1, s8
	s_ashr_i32 s8, s8, 2
	v_add_u32_e32 v0, s8, v72
	v_ashrrev_i32_e32 v1, 31, v0
	v_lshlrev_b64 v[0:1], 2, v[0:1]
	v_add_co_u32_e32 v0, vcc, s14, v0
	v_addc_co_u32_e32 v1, vcc, v2, v1, vcc
	v_add_u32_e32 v2, s1, v52
	v_ashrrev_i32_e32 v3, 31, v2
	v_lshlrev_b64 v[2:3], 1, v[2:3]
	v_add_co_u32_e32 v2, vcc, s16, v2
	global_load_dword v8, v[0:1], off
	v_addc_co_u32_e32 v3, vcc, v4, v3, vcc
	global_load_dwordx2 v[54:55], v[2:3], off
	s_lshr_b32 s2, s22, 2
	s_mul_i32 s10, s2, s0
	s_ashr_i32 s11, s10, 31
	v_mov_b32_e32 v3, s11
	v_add_co_u32_e32 v2, vcc, s10, v52
	v_lshlrev_b64 v[0:1], 2, v[52:53]
	s_lshl_b64 s[24:25], s[10:11], 2
	v_addc_co_u32_e32 v3, vcc, v3, v53, vcc
	v_mov_b32_e32 v4, s25
	v_add_co_u32_e32 v6, vcc, s24, v0
	v_addc_co_u32_e32 v7, vcc, v4, v1, vcc
	s_ashr_i32 s1, s0, 31
	v_lshlrev_b64 v[4:5], 2, v[2:3]
	v_add_co_u32_e32 v76, vcc, 8, v6
	s_add_i32 s8, s5, s22
	s_lshl_b64 s[2:3], s[0:1], 5
	s_lshl_b64 s[20:21], s[0:1], 2
	v_addc_co_u32_e32 v77, vcc, 0, v7, vcc
	v_mad_i64_i32 v[2:3], s[10:11], s0, 12, v[4:5]
	s_add_u32 s9, s20, s24
	v_mad_i64_i32 v[6:7], s[10:11], s0, 20, v[4:5]
	v_add_co_u32_e32 v78, vcc, 8, v2
	s_addc_u32 s20, s21, s25
	s_lshl_b64 s[10:11], s[0:1], 3
	v_addc_co_u32_e32 v79, vcc, 0, v3, vcc
	v_mov_b32_e32 v2, s20
	s_add_u32 s20, s10, s24
	v_add_co_u32_e32 v80, vcc, s9, v0
	v_addc_co_u32_e32 v81, vcc, v2, v1, vcc
	s_addc_u32 s9, s11, s25
	v_mov_b32_e32 v2, s9
	v_add_co_u32_e32 v82, vcc, s20, v0
	s_lshl_b64 s[10:11], s[0:1], 4
	v_addc_co_u32_e32 v83, vcc, v2, v1, vcc
	v_mov_b32_e32 v3, s11
	v_add_co_u32_e32 v0, vcc, s10, v4
	v_addc_co_u32_e32 v1, vcc, v3, v5, vcc
	v_add_co_u32_e32 v85, vcc, 8, v0
	v_addc_co_u32_e32 v86, vcc, 0, v1, vcc
	;; [unrolled: 2-line block ×3, first 2 shown]
	v_mad_i64_i32 v[6:7], s[10:11], s0, 24, v[4:5]
	v_add_co_u32_e32 v89, vcc, 8, v6
	v_addc_co_u32_e32 v90, vcc, 0, v7, vcc
	v_mad_i64_i32 v[4:5], s[10:11], s0, 28, v[4:5]
	v_add_co_u32_e32 v91, vcc, 8, v4
	v_addc_co_u32_e32 v92, vcc, 0, v5, vcc
	v_mov_b32_e32 v53, 0
	v_mov_b32_e32 v74, 0
	v_mov_b32_e32 v75, 0
	s_waitcnt vmcnt(1)
	v_and_b32_e32 v0, 0xff, v8
	v_bfe_u32 v1, v8, 8, 8
	v_bfe_u32 v2, v8, 16, 8
	v_lshrrev_b32_e32 v3, 24, v8
	v_mov_b32_e32 v84, 0
	s_branch .LBB22_10
.LBB22_9:                               ;   in Loop: Header=BB22_10 Depth=1
	v_mov_b32_e32 v93, s13
	v_add_co_u32_e32 v4, vcc, s12, v76
	v_addc_co_u32_e32 v5, vcc, v93, v77, vcc
	global_load_dwordx4 v[24:27], v[4:5], off offset:-8
	v_add_co_u32_e32 v20, vcc, s12, v80
	v_addc_co_u32_e32 v21, vcc, v93, v81, vcc
	v_mov_b32_e32 v66, s4
	v_add_co_u32_e32 v28, vcc, s12, v82
	v_addc_co_u32_e32 v29, vcc, v93, v83, vcc
	ds_read_b128 v[4:7], v66
	ds_read_b128 v[8:11], v66 offset:16
	ds_read_b128 v[16:19], v66 offset:256
	;; [unrolled: 1-line block ×3, first 2 shown]
	global_load_dwordx4 v[20:23], v[20:21], off
	s_nop 0
	global_load_dwordx4 v[32:35], v[28:29], off
	v_add_u32_e32 v95, v0, v73
	v_add_u32_e32 v94, v1, v73
	;; [unrolled: 1-line block ×4, first 2 shown]
	s_waitcnt lgkmcnt(3)
	v_cvt_f32_f16_e32 v28, v4
	s_waitcnt lgkmcnt(1)
	v_cvt_f32_f16_e32 v30, v16
	v_cvt_f32_f16_sdwa v4, v4 dst_sel:DWORD dst_unused:UNUSED_PAD src0_sel:WORD_1
	v_cvt_f32_f16_sdwa v16, v16 dst_sel:DWORD dst_unused:UNUSED_PAD src0_sel:WORD_1
	v_cvt_f32_f16_e32 v36, v5
	v_cvt_f32_f16_e32 v38, v17
	s_add_i32 s22, s22, 32
	s_waitcnt vmcnt(2)
	v_sub_u32_sdwa v29, v25, v94 dst_sel:DWORD dst_unused:UNUSED_PAD src0_sel:BYTE_0 src1_sel:DWORD
	v_sub_u32_sdwa v31, v24, v95 dst_sel:DWORD dst_unused:UNUSED_PAD src0_sel:BYTE_0 src1_sel:DWORD
	;; [unrolled: 1-line block ×4, first 2 shown]
	v_sub_u32_sdwa v40, v25, v94 dst_sel:DWORD dst_unused:UNUSED_PAD src0_sel:BYTE_1 src1_sel:DWORD
	v_sub_u32_sdwa v41, v24, v95 dst_sel:DWORD dst_unused:UNUSED_PAD src0_sel:BYTE_1 src1_sel:DWORD
	v_sub_u32_sdwa v42, v27, v96 dst_sel:DWORD dst_unused:UNUSED_PAD src0_sel:BYTE_1 src1_sel:DWORD
	v_sub_u32_sdwa v43, v26, v97 dst_sel:DWORD dst_unused:UNUSED_PAD src0_sel:BYTE_1 src1_sel:DWORD
	v_sub_u32_sdwa v46, v27, v96 dst_sel:DWORD dst_unused:UNUSED_PAD src0_sel:BYTE_2 src1_sel:DWORD
	v_sub_u32_sdwa v47, v26, v97 dst_sel:DWORD dst_unused:UNUSED_PAD src0_sel:BYTE_2 src1_sel:DWORD
	v_sub_u32_sdwa v56, v27, v96 dst_sel:DWORD dst_unused:UNUSED_PAD src0_sel:BYTE_3 src1_sel:DWORD
	v_sub_u32_sdwa v57, v26, v97 dst_sel:DWORD dst_unused:UNUSED_PAD src0_sel:BYTE_3 src1_sel:DWORD
	v_cvt_f32_i32_e32 v26, v29
	v_cvt_f32_i32_e32 v27, v31
	;; [unrolled: 1-line block ×4, first 2 shown]
	v_sub_u32_sdwa v44, v25, v94 dst_sel:DWORD dst_unused:UNUSED_PAD src0_sel:BYTE_2 src1_sel:DWORD
	v_sub_u32_sdwa v45, v24, v95 dst_sel:DWORD dst_unused:UNUSED_PAD src0_sel:BYTE_2 src1_sel:DWORD
	v_cvt_f32_i32_e32 v37, v40
	v_cvt_f32_i32_e32 v39, v41
	;; [unrolled: 1-line block ×8, first 2 shown]
	v_sub_u32_sdwa v25, v25, v94 dst_sel:DWORD dst_unused:UNUSED_PAD src0_sel:BYTE_3 src1_sel:DWORD
	v_sub_u32_sdwa v24, v24, v95 dst_sel:DWORD dst_unused:UNUSED_PAD src0_sel:BYTE_3 src1_sel:DWORD
	v_cvt_f32_i32_e32 v25, v25
	v_cvt_f32_i32_e32 v24, v24
	v_cvt_f16_f32_e32 v26, v26
	v_cvt_f16_f32_e32 v27, v27
	;; [unrolled: 1-line block ×14, first 2 shown]
	v_cvt_f32_f16_e32 v25, v26
	v_cvt_f32_f16_e32 v24, v27
	;; [unrolled: 1-line block ×12, first 2 shown]
	v_pk_fma_f32 v[50:51], v[24:25], v[28:29], 0 op_sel_hi:[1,0,0]
	v_pk_fma_f32 v[24:25], v[24:25], v[30:31], 0 op_sel_hi:[1,0,0]
	;; [unrolled: 1-line block ×8, first 2 shown]
	v_cvt_f32_i32_e32 v16, v56
	v_pk_fma_f32 v[30:31], v[44:45], v[36:37], v[30:31] op_sel_hi:[1,0,1]
	v_pk_fma_f32 v[28:29], v[46:47], v[36:37], v[28:29] op_sel_hi:[1,0,1]
	v_cvt_f32_i32_e32 v36, v57
	v_cvt_f32_f16_e32 v49, v58
	v_cvt_f32_f16_e32 v48, v59
	v_cvt_f32_f16_sdwa v4, v5 dst_sel:DWORD dst_unused:UNUSED_PAD src0_sel:WORD_1
	v_cvt_f16_f32_e32 v5, v16
	v_cvt_f16_f32_e32 v36, v36
	v_cvt_f32_f16_sdwa v16, v17 dst_sel:DWORD dst_unused:UNUSED_PAD src0_sel:WORD_1
	v_pk_fma_f32 v[24:25], v[44:45], v[38:39], v[24:25] op_sel_hi:[1,0,1]
	v_pk_fma_f32 v[30:31], v[48:49], v[4:5], v[30:31] op_sel_hi:[1,0,1]
	v_cvt_f32_f16_e32 v41, v5
	s_waitcnt vmcnt(1)
	v_sub_u32_sdwa v5, v21, v94 dst_sel:DWORD dst_unused:UNUSED_PAD src0_sel:BYTE_0 src1_sel:DWORD
	v_cvt_f32_f16_e32 v40, v36
	v_cvt_f32_i32_e32 v17, v5
	v_sub_u32_sdwa v5, v20, v95 dst_sel:DWORD dst_unused:UNUSED_PAD src0_sel:BYTE_0 src1_sel:DWORD
	v_cvt_f32_i32_e32 v36, v5
	v_pk_fma_f32 v[4:5], v[40:41], v[4:5], v[28:29] op_sel_hi:[1,0,1]
	v_sub_u32_sdwa v29, v23, v96 dst_sel:DWORD dst_unused:UNUSED_PAD src0_sel:BYTE_0 src1_sel:DWORD
	v_pk_fma_f32 v[24:25], v[48:49], v[16:17], v[24:25] op_sel_hi:[1,0,1]
	v_cvt_f16_f32_e32 v28, v36
	v_cvt_f32_i32_e32 v36, v29
	v_sub_u32_sdwa v29, v22, v97 dst_sel:DWORD dst_unused:UNUSED_PAD src0_sel:BYTE_0 src1_sel:DWORD
	v_cvt_f16_f32_e32 v17, v17
	v_cvt_f32_i32_e32 v37, v29
	v_cvt_f32_f16_e32 v28, v28
	v_cvt_f32_f16_e32 v42, v6
	;; [unrolled: 1-line block ×3, first 2 shown]
	v_cvt_f16_f32_e32 v17, v36
	v_cvt_f16_f32_e32 v37, v37
	v_cvt_f32_f16_e32 v36, v18
	v_pk_fma_f32 v[26:27], v[46:47], v[38:39], v[26:27] op_sel_hi:[1,0,1]
	v_cvt_f32_f16_e32 v39, v17
	v_pk_fma_f32 v[40:41], v[40:41], v[16:17], v[26:27] op_sel_hi:[1,0,1]
	v_pk_fma_f32 v[16:17], v[28:29], v[36:37], v[24:25] op_sel_hi:[1,0,1]
	v_add_co_u32_e32 v24, vcc, s12, v78
	v_addc_co_u32_e32 v25, vcc, v93, v79, vcc
	v_pk_fma_f32 v[56:57], v[28:29], v[42:43], v[30:31] op_sel_hi:[1,0,1]
	global_load_dwordx4 v[28:31], v[24:25], off offset:-8
	s_waitcnt vmcnt(1)
	v_sub_u32_sdwa v24, v33, v94 dst_sel:DWORD dst_unused:UNUSED_PAD src0_sel:BYTE_0 src1_sel:DWORD
	v_cvt_f32_i32_e32 v24, v24
	v_sub_u32_sdwa v25, v32, v95 dst_sel:DWORD dst_unused:UNUSED_PAD src0_sel:BYTE_0 src1_sel:DWORD
	v_cvt_f32_f16_e32 v38, v37
	v_cvt_f32_i32_e32 v25, v25
	v_sub_u32_sdwa v26, v33, v94 dst_sel:DWORD dst_unused:UNUSED_PAD src0_sel:BYTE_1 src1_sel:DWORD
	v_sub_u32_sdwa v27, v32, v95 dst_sel:DWORD dst_unused:UNUSED_PAD src0_sel:BYTE_1 src1_sel:DWORD
	v_cvt_f32_i32_e32 v26, v26
	v_cvt_f32_i32_e32 v27, v27
	v_cvt_f16_f32_e32 v37, v24
	v_add_co_u32_e32 v24, vcc, s12, v85
	v_pk_fma_f32 v[4:5], v[38:39], v[42:43], v[4:5] op_sel_hi:[1,0,1]
	v_cvt_f16_f32_e32 v42, v25
	v_addc_co_u32_e32 v25, vcc, v93, v86, vcc
	v_cvt_f16_f32_e32 v44, v26
	v_cvt_f16_f32_e32 v46, v27
	global_load_dwordx4 v[24:27], v[24:25], off offset:-8
	v_cvt_f32_f16_e32 v43, v37
	v_cvt_f32_f16_e32 v42, v42
	v_cvt_f32_f16_e32 v45, v44
	v_cvt_f32_f16_e32 v44, v46
	v_cvt_f32_f16_e32 v46, v8
	v_pk_fma_f32 v[58:59], v[38:39], v[36:37], v[40:41] op_sel_hi:[1,0,1]
	s_waitcnt lgkmcnt(0)
	v_cvt_f32_f16_e32 v36, v12
	v_cvt_f32_f16_sdwa v8, v8 dst_sel:DWORD dst_unused:UNUSED_PAD src0_sel:WORD_1
	v_cvt_f32_f16_sdwa v12, v12 dst_sel:DWORD dst_unused:UNUSED_PAD src0_sel:WORD_1
	v_pk_fma_f32 v[38:39], v[42:43], v[46:47], 0 op_sel_hi:[1,0,0]
	v_pk_fma_f32 v[40:41], v[42:43], v[36:37], 0 op_sel_hi:[1,0,0]
	v_sub_u32_sdwa v37, v35, v96 dst_sel:DWORD dst_unused:UNUSED_PAD src0_sel:BYTE_0 src1_sel:DWORD
	v_sub_u32_sdwa v42, v34, v97 dst_sel:DWORD dst_unused:UNUSED_PAD src0_sel:BYTE_0 src1_sel:DWORD
	v_pk_fma_f32 v[38:39], v[44:45], v[8:9], v[38:39] op_sel_hi:[1,0,1]
	v_pk_fma_f32 v[40:41], v[44:45], v[12:13], v[40:41] op_sel_hi:[1,0,1]
	v_cvt_f32_i32_e32 v37, v37
	v_cvt_f32_i32_e32 v42, v42
	v_sub_u32_sdwa v43, v35, v96 dst_sel:DWORD dst_unused:UNUSED_PAD src0_sel:BYTE_1 src1_sel:DWORD
	v_sub_u32_sdwa v44, v34, v97 dst_sel:DWORD dst_unused:UNUSED_PAD src0_sel:BYTE_1 src1_sel:DWORD
	v_cvt_f32_i32_e32 v43, v43
	v_cvt_f32_i32_e32 v44, v44
	v_cvt_f16_f32_e32 v37, v37
	v_cvt_f16_f32_e32 v42, v42
	;; [unrolled: 1-line block ×4, first 2 shown]
	v_cvt_f32_f16_e32 v43, v37
	v_cvt_f32_f16_e32 v42, v42
	v_sub_u32_sdwa v37, v33, v94 dst_sel:DWORD dst_unused:UNUSED_PAD src0_sel:BYTE_2 src1_sel:DWORD
	v_cvt_f32_f16_e32 v45, v45
	v_cvt_f32_f16_e32 v44, v44
	v_cvt_f32_i32_e32 v37, v37
	v_sub_u32_sdwa v47, v32, v95 dst_sel:DWORD dst_unused:UNUSED_PAD src0_sel:BYTE_2 src1_sel:DWORD
	v_cvt_f32_i32_e32 v48, v47
	v_pk_fma_f32 v[46:47], v[42:43], v[46:47], 0 op_sel_hi:[1,0,0]
	v_pk_fma_f32 v[46:47], v[44:45], v[8:9], v[46:47] op_sel_hi:[1,0,1]
	v_cvt_f16_f32_e32 v8, v37
	v_pk_fma_f32 v[36:37], v[42:43], v[36:37], 0 op_sel_hi:[1,0,0]
	v_pk_fma_f32 v[36:37], v[44:45], v[12:13], v[36:37] op_sel_hi:[1,0,1]
	v_cvt_f16_f32_e32 v48, v48
	v_cvt_f32_f16_e32 v43, v8
	v_sub_u32_sdwa v8, v35, v96 dst_sel:DWORD dst_unused:UNUSED_PAD src0_sel:BYTE_2 src1_sel:DWORD
	v_cvt_f32_i32_e32 v44, v8
	v_sub_u32_sdwa v8, v34, v97 dst_sel:DWORD dst_unused:UNUSED_PAD src0_sel:BYTE_2 src1_sel:DWORD
	v_cvt_f32_i32_e32 v45, v8
	v_cvt_f32_f16_e32 v42, v48
	v_cvt_f32_f16_e32 v8, v9
	;; [unrolled: 1-line block ×3, first 2 shown]
	v_cvt_f16_f32_e32 v48, v44
	v_cvt_f16_f32_e32 v49, v45
	v_sub_u32_sdwa v33, v33, v94 dst_sel:DWORD dst_unused:UNUSED_PAD src0_sel:BYTE_3 src1_sel:DWORD
	v_sub_u32_sdwa v32, v32, v95 dst_sel:DWORD dst_unused:UNUSED_PAD src0_sel:BYTE_3 src1_sel:DWORD
	v_pk_fma_f32 v[38:39], v[42:43], v[8:9], v[38:39] op_sel_hi:[1,0,1]
	v_pk_fma_f32 v[44:45], v[42:43], v[12:13], v[40:41] op_sel_hi:[1,0,1]
	v_cvt_f32_f16_e32 v43, v48
	v_cvt_f32_f16_e32 v42, v49
	v_cvt_f32_i32_e32 v33, v33
	v_cvt_f32_i32_e32 v32, v32
	v_sub_u32_sdwa v35, v35, v96 dst_sel:DWORD dst_unused:UNUSED_PAD src0_sel:BYTE_3 src1_sel:DWORD
	v_pk_fma_f32 v[40:41], v[42:43], v[8:9], v[46:47] op_sel_hi:[1,0,1]
	v_pk_fma_f32 v[42:43], v[42:43], v[12:13], v[36:37] op_sel_hi:[1,0,1]
	v_cvt_f16_f32_e32 v8, v33
	v_cvt_f16_f32_e32 v12, v32
	v_cvt_f32_f16_sdwa v48, v13 dst_sel:DWORD dst_unused:UNUSED_PAD src0_sel:WORD_1
	v_cvt_f32_f16_sdwa v50, v9 dst_sel:DWORD dst_unused:UNUSED_PAD src0_sel:WORD_1
	v_cvt_f32_f16_e32 v33, v8
	v_cvt_f32_f16_e32 v32, v12
	v_cvt_f32_i32_e32 v8, v35
	v_sub_u32_sdwa v34, v34, v97 dst_sel:DWORD dst_unused:UNUSED_PAD src0_sel:BYTE_3 src1_sel:DWORD
	v_cvt_f32_i32_e32 v34, v34
	v_pk_fma_f32 v[12:13], v[32:33], v[50:51], v[38:39] op_sel_hi:[1,0,1]
	v_cvt_f16_f32_e32 v35, v8
	v_pk_fma_f32 v[8:9], v[32:33], v[48:49], v[44:45] op_sel_hi:[1,0,1]
	v_add_co_u32_e32 v32, vcc, s12, v87
	v_addc_co_u32_e32 v33, vcc, v93, v88, vcc
	global_load_dwordx4 v[36:39], v[32:33], off offset:-8
	v_cvt_f16_f32_e32 v34, v34
	v_cvt_f32_f16_e32 v61, v35
	s_waitcnt vmcnt(1)
	v_sub_u32_sdwa v32, v25, v94 dst_sel:DWORD dst_unused:UNUSED_PAD src0_sel:BYTE_0 src1_sel:DWORD
	v_cvt_f32_i32_e32 v32, v32
	v_cvt_f32_f16_e32 v60, v34
	v_sub_u32_sdwa v33, v24, v95 dst_sel:DWORD dst_unused:UNUSED_PAD src0_sel:BYTE_0 src1_sel:DWORD
	v_sub_u32_sdwa v34, v25, v94 dst_sel:DWORD dst_unused:UNUSED_PAD src0_sel:BYTE_1 src1_sel:DWORD
	v_sub_u32_sdwa v35, v24, v95 dst_sel:DWORD dst_unused:UNUSED_PAD src0_sel:BYTE_1 src1_sel:DWORD
	v_cvt_f32_i32_e32 v33, v33
	v_cvt_f16_f32_e32 v32, v32
	v_cvt_f32_i32_e32 v34, v34
	v_cvt_f32_i32_e32 v35, v35
	ds_read_b128 v[44:47], v66 offset:32
	v_cvt_f16_f32_e32 v33, v33
	v_cvt_f32_f16_e32 v63, v32
	v_cvt_f16_f32_e32 v32, v34
	v_cvt_f16_f32_e32 v34, v35
	v_cvt_f32_f16_e32 v62, v33
	v_pk_fma_f32 v[68:69], v[60:61], v[50:51], v[40:41] op_sel_hi:[1,0,1]
	v_cvt_f32_f16_e32 v65, v32
	v_cvt_f32_f16_e32 v64, v34
	ds_read_b128 v[32:35], v66 offset:48
	s_waitcnt lgkmcnt(1)
	v_cvt_f32_f16_e32 v98, v44
	v_cvt_f32_f16_sdwa v44, v44 dst_sel:DWORD dst_unused:UNUSED_PAD src0_sel:WORD_1
	v_pk_fma_f32 v[70:71], v[60:61], v[48:49], v[42:43] op_sel_hi:[1,0,1]
	ds_read_b128 v[48:51], v66 offset:288
	v_pk_fma_f32 v[40:41], v[62:63], v[98:99], 0 op_sel_hi:[1,0,0]
	v_pk_fma_f32 v[60:61], v[64:65], v[44:45], v[40:41] op_sel_hi:[1,0,1]
	v_sub_u32_sdwa v40, v27, v96 dst_sel:DWORD dst_unused:UNUSED_PAD src0_sel:BYTE_0 src1_sel:DWORD
	v_cvt_f32_i32_e32 v67, v40
	v_sub_u32_sdwa v40, v26, v97 dst_sel:DWORD dst_unused:UNUSED_PAD src0_sel:BYTE_0 src1_sel:DWORD
	v_cvt_f32_i32_e32 v99, v40
	ds_read_b128 v[40:43], v66 offset:304
	s_waitcnt lgkmcnt(1)
	v_cvt_f32_f16_e32 v66, v48
	v_cvt_f16_f32_e32 v67, v67
	v_cvt_f32_f16_sdwa v48, v48 dst_sel:DWORD dst_unused:UNUSED_PAD src0_sel:WORD_1
	v_cvt_f16_f32_e32 v99, v99
	v_cvt_f32_f16_sdwa v18, v18 dst_sel:DWORD dst_unused:UNUSED_PAD src0_sel:WORD_1
	v_pk_fma_f32 v[62:63], v[62:63], v[66:67], 0 op_sel_hi:[1,0,0]
	v_pk_fma_f32 v[62:63], v[64:65], v[48:49], v[62:63] op_sel_hi:[1,0,1]
	v_cvt_f32_f16_e32 v65, v67
	v_cvt_f32_f16_e32 v64, v99
	v_sub_u32_sdwa v67, v27, v96 dst_sel:DWORD dst_unused:UNUSED_PAD src0_sel:BYTE_1 src1_sel:DWORD
	v_sub_u32_sdwa v99, v26, v97 dst_sel:DWORD dst_unused:UNUSED_PAD src0_sel:BYTE_1 src1_sel:DWORD
	v_cvt_f32_i32_e32 v67, v67
	v_cvt_f32_i32_e32 v99, v99
	v_cvt_f32_f16_sdwa v6, v6 dst_sel:DWORD dst_unused:UNUSED_PAD src0_sel:WORD_1
	v_cvt_f16_f32_e32 v67, v67
	v_cvt_f16_f32_e32 v99, v99
	v_cvt_f32_f16_e32 v101, v67
	v_cvt_f32_f16_e32 v100, v99
	v_pk_fma_f32 v[98:99], v[64:65], v[98:99], 0 op_sel_hi:[1,0,0]
	v_pk_fma_f32 v[64:65], v[64:65], v[66:67], 0 op_sel_hi:[1,0,0]
	v_sub_u32_sdwa v66, v27, v96 dst_sel:DWORD dst_unused:UNUSED_PAD src0_sel:BYTE_2 src1_sel:DWORD
	v_pk_fma_f32 v[98:99], v[100:101], v[44:45], v[98:99] op_sel_hi:[1,0,1]
	v_sub_u32_sdwa v44, v25, v94 dst_sel:DWORD dst_unused:UNUSED_PAD src0_sel:BYTE_2 src1_sel:DWORD
	;; [unrolled: 2-line block ×3, first 2 shown]
	v_sub_u32_sdwa v67, v26, v97 dst_sel:DWORD dst_unused:UNUSED_PAD src0_sel:BYTE_2 src1_sel:DWORD
	v_cvt_f32_i32_e32 v44, v44
	v_cvt_f32_i32_e32 v48, v48
	;; [unrolled: 1-line block ×4, first 2 shown]
	v_cvt_f16_f32_e32 v44, v44
	v_cvt_f16_f32_e32 v48, v48
	;; [unrolled: 1-line block ×4, first 2 shown]
	v_cvt_f32_f16_e32 v67, v44
	v_cvt_f32_f16_e32 v66, v48
	;; [unrolled: 1-line block ×6, first 2 shown]
	v_pk_fma_f32 v[62:63], v[66:67], v[44:45], v[62:63] op_sel_hi:[1,0,1]
	v_pk_fma_f32 v[64:65], v[100:101], v[44:45], v[64:65] op_sel_hi:[1,0,1]
	;; [unrolled: 1-line block ×4, first 2 shown]
	v_sub_u32_sdwa v48, v21, v94 dst_sel:DWORD dst_unused:UNUSED_PAD src0_sel:BYTE_1 src1_sel:DWORD
	v_cvt_f32_i32_e32 v48, v48
	v_sub_u32_sdwa v44, v20, v95 dst_sel:DWORD dst_unused:UNUSED_PAD src0_sel:BYTE_1 src1_sel:DWORD
	v_sub_u32_sdwa v98, v22, v97 dst_sel:DWORD dst_unused:UNUSED_PAD src0_sel:BYTE_1 src1_sel:DWORD
	;; [unrolled: 1-line block ×3, first 2 shown]
	v_cvt_f32_i32_e32 v44, v44
	v_cvt_f16_f32_e32 v48, v48
	v_cvt_f32_i32_e32 v98, v98
	v_cvt_f32_i32_e32 v100, v99
	v_cvt_f16_f32_e32 v44, v44
	v_cvt_f32_f16_e32 v99, v48
	v_cvt_f16_f32_e32 v48, v98
	v_cvt_f16_f32_e32 v101, v100
	v_cvt_f32_f16_e32 v98, v44
	v_sub_u32_sdwa v44, v23, v96 dst_sel:DWORD dst_unused:UNUSED_PAD src0_sel:BYTE_2 src1_sel:DWORD
	v_cvt_f32_f16_e32 v100, v48
	v_cvt_f32_f16_e32 v101, v101
	v_pk_fma_f32 v[16:17], v[98:99], v[18:19], v[16:17] op_sel_hi:[1,0,1]
	v_pk_fma_f32 v[56:57], v[98:99], v[6:7], v[56:57] op_sel_hi:[1,0,1]
	v_sub_u32_sdwa v48, v22, v97 dst_sel:DWORD dst_unused:UNUSED_PAD src0_sel:BYTE_2 src1_sel:DWORD
	v_pk_fma_f32 v[58:59], v[100:101], v[18:19], v[58:59] op_sel_hi:[1,0,1]
	v_sub_u32_sdwa v18, v21, v94 dst_sel:DWORD dst_unused:UNUSED_PAD src0_sel:BYTE_2 src1_sel:DWORD
	v_cvt_f32_i32_e32 v18, v18
	v_pk_fma_f32 v[4:5], v[100:101], v[6:7], v[4:5] op_sel_hi:[1,0,1]
	v_sub_u32_sdwa v6, v20, v95 dst_sel:DWORD dst_unused:UNUSED_PAD src0_sel:BYTE_2 src1_sel:DWORD
	v_cvt_f32_i32_e32 v6, v6
	v_cvt_f16_f32_e32 v18, v18
	v_cvt_f32_i32_e32 v44, v44
	v_cvt_f32_i32_e32 v48, v48
	v_cvt_f16_f32_e32 v6, v6
	v_cvt_f32_f16_e32 v99, v18
	v_cvt_f16_f32_e32 v18, v44
	v_cvt_f16_f32_e32 v44, v48
	v_cvt_f32_f16_e32 v98, v6
	v_cvt_f32_f16_e32 v6, v7
	;; [unrolled: 1-line block ×5, first 2 shown]
	v_pk_fma_f32 v[56:57], v[98:99], v[6:7], v[56:57] op_sel_hi:[1,0,1]
	v_sub_u32_sdwa v44, v31, v96 dst_sel:DWORD dst_unused:UNUSED_PAD src0_sel:BYTE_0 src1_sel:DWORD
	v_pk_fma_f32 v[4:5], v[100:101], v[6:7], v[4:5] op_sel_hi:[1,0,1]
	v_pk_fma_f32 v[98:99], v[98:99], v[18:19], v[16:17] op_sel_hi:[1,0,1]
	v_sub_u32_sdwa v6, v20, v95 dst_sel:DWORD dst_unused:UNUSED_PAD src0_sel:BYTE_3 src1_sel:DWORD
	v_sub_u32_sdwa v16, v21, v94 dst_sel:DWORD dst_unused:UNUSED_PAD src0_sel:BYTE_3 src1_sel:DWORD
	v_cvt_f32_i32_e32 v16, v16
	v_cvt_f32_i32_e32 v6, v6
	v_pk_fma_f32 v[58:59], v[100:101], v[18:19], v[58:59] op_sel_hi:[1,0,1]
	v_sub_u32_sdwa v18, v23, v96 dst_sel:DWORD dst_unused:UNUSED_PAD src0_sel:BYTE_3 src1_sel:DWORD
	v_cvt_f16_f32_e32 v16, v16
	v_cvt_f16_f32_e32 v6, v6
	v_cvt_f32_i32_e32 v18, v18
	v_sub_u32_sdwa v17, v22, v97 dst_sel:DWORD dst_unused:UNUSED_PAD src0_sel:BYTE_3 src1_sel:DWORD
	v_cvt_f32_f16_sdwa v20, v7 dst_sel:DWORD dst_unused:UNUSED_PAD src0_sel:WORD_1
	v_cvt_f32_f16_e32 v7, v16
	v_cvt_f32_f16_e32 v6, v6
	v_cvt_f32_i32_e32 v21, v17
	v_cvt_f16_f32_e32 v18, v18
	v_cvt_f32_f16_sdwa v22, v19 dst_sel:DWORD dst_unused:UNUSED_PAD src0_sel:WORD_1
	v_cvt_f32_i32_e32 v48, v44
	v_pk_fma_f32 v[16:17], v[6:7], v[20:21], v[56:57] op_sel_hi:[1,0,1]
	v_cvt_f32_f16_e32 v57, v18
	v_sub_u32_sdwa v18, v29, v94 dst_sel:DWORD dst_unused:UNUSED_PAD src0_sel:BYTE_0 src1_sel:DWORD
	v_cvt_f16_f32_e32 v19, v21
	v_cvt_f32_i32_e32 v21, v18
	v_sub_u32_sdwa v18, v28, v95 dst_sel:DWORD dst_unused:UNUSED_PAD src0_sel:BYTE_0 src1_sel:DWORD
	v_cvt_f32_i32_e32 v23, v18
	v_cvt_f32_f16_e32 v56, v19
	v_cvt_f16_f32_e32 v21, v21
	v_cvt_f16_f32_e32 v48, v48
	v_pk_fma_f32 v[18:19], v[6:7], v[22:23], v[98:99] op_sel_hi:[1,0,1]
	v_cvt_f16_f32_e32 v23, v23
	v_pk_fma_f32 v[4:5], v[56:57], v[20:21], v[4:5] op_sel_hi:[1,0,1]
	v_cvt_f32_f16_e32 v21, v21
	v_cvt_f32_f16_e32 v44, v14
	v_pk_fma_f32 v[6:7], v[56:57], v[22:23], v[58:59] op_sel_hi:[1,0,1]
	v_cvt_f32_f16_e32 v20, v23
	v_sub_u32_sdwa v23, v30, v97 dst_sel:DWORD dst_unused:UNUSED_PAD src0_sel:BYTE_0 src1_sel:DWORD
	v_cvt_f32_f16_e32 v22, v10
	v_cvt_f32_i32_e32 v23, v23
	v_sub_u32_sdwa v56, v29, v94 dst_sel:DWORD dst_unused:UNUSED_PAD src0_sel:BYTE_1 src1_sel:DWORD
	v_cvt_f32_i32_e32 v58, v56
	v_sub_u32_sdwa v56, v28, v95 dst_sel:DWORD dst_unused:UNUSED_PAD src0_sel:BYTE_1 src1_sel:DWORD
	v_pk_fma_f32 v[12:13], v[20:21], v[22:23], v[12:13] op_sel_hi:[1,0,1]
	v_cvt_f16_f32_e32 v23, v23
	v_cvt_f32_i32_e32 v59, v56
	v_cvt_f32_f16_e32 v57, v48
	v_pk_fma_f32 v[8:9], v[20:21], v[44:45], v[8:9] op_sel_hi:[1,0,1]
	v_cvt_f32_f16_e32 v56, v23
	v_cvt_f16_f32_e32 v23, v58
	v_cvt_f16_f32_e32 v48, v59
	v_cvt_f32_f16_sdwa v10, v10 dst_sel:DWORD dst_unused:UNUSED_PAD src0_sel:WORD_1
	v_pk_fma_f32 v[20:21], v[56:57], v[44:45], v[70:71] op_sel_hi:[1,0,1]
	v_cvt_f32_f16_e32 v59, v23
	v_sub_u32_sdwa v23, v31, v96 dst_sel:DWORD dst_unused:UNUSED_PAD src0_sel:BYTE_1 src1_sel:DWORD
	v_cvt_f32_i32_e32 v44, v23
	v_sub_u32_sdwa v23, v30, v97 dst_sel:DWORD dst_unused:UNUSED_PAD src0_sel:BYTE_1 src1_sel:DWORD
	v_cvt_f32_f16_e32 v58, v48
	v_cvt_f32_i32_e32 v48, v23
	v_cvt_f16_f32_e32 v44, v44
	v_pk_fma_f32 v[22:23], v[56:57], v[22:23], v[68:69] op_sel_hi:[1,0,1]
	v_cvt_f32_f16_sdwa v14, v14 dst_sel:DWORD dst_unused:UNUSED_PAD src0_sel:WORD_1
	v_cvt_f16_f32_e32 v48, v48
	v_cvt_f32_f16_e32 v57, v44
	v_sub_u32_sdwa v44, v29, v94 dst_sel:DWORD dst_unused:UNUSED_PAD src0_sel:BYTE_2 src1_sel:DWORD
	v_cvt_f32_i32_e32 v44, v44
	v_cvt_f32_f16_e32 v56, v48
	v_sub_u32_sdwa v48, v28, v95 dst_sel:DWORD dst_unused:UNUSED_PAD src0_sel:BYTE_2 src1_sel:DWORD
	v_cvt_f32_i32_e32 v48, v48
	v_pk_fma_f32 v[12:13], v[58:59], v[10:11], v[12:13] op_sel_hi:[1,0,1]
	v_pk_fma_f32 v[8:9], v[58:59], v[14:15], v[8:9] op_sel_hi:[1,0,1]
	;; [unrolled: 1-line block ×3, first 2 shown]
	v_cvt_f16_f32_e32 v14, v44
	v_cvt_f16_f32_e32 v44, v48
	v_sub_u32_sdwa v48, v31, v96 dst_sel:DWORD dst_unused:UNUSED_PAD src0_sel:BYTE_2 src1_sel:DWORD
	v_sub_u32_sdwa v58, v30, v97 dst_sel:DWORD dst_unused:UNUSED_PAD src0_sel:BYTE_2 src1_sel:DWORD
	v_cvt_f32_i32_e32 v48, v48
	v_cvt_f32_i32_e32 v68, v58
	v_cvt_f32_f16_e32 v59, v14
	v_cvt_f32_f16_e32 v58, v44
	v_cvt_f16_f32_e32 v48, v48
	v_cvt_f16_f32_e32 v68, v68
	v_cvt_f32_f16_e32 v44, v15
	v_cvt_f32_f16_e32 v14, v11
	;; [unrolled: 1-line block ×4, first 2 shown]
	v_pk_fma_f32 v[8:9], v[58:59], v[44:45], v[8:9] op_sel_hi:[1,0,1]
	v_sub_u32_sdwa v29, v29, v94 dst_sel:DWORD dst_unused:UNUSED_PAD src0_sel:BYTE_3 src1_sel:DWORD
	v_sub_u32_sdwa v31, v31, v96 dst_sel:DWORD dst_unused:UNUSED_PAD src0_sel:BYTE_3 src1_sel:DWORD
	v_pk_fma_f32 v[20:21], v[68:69], v[44:45], v[20:21] op_sel_hi:[1,0,1]
	v_sub_u32_sdwa v44, v28, v95 dst_sel:DWORD dst_unused:UNUSED_PAD src0_sel:BYTE_3 src1_sel:DWORD
	v_sub_u32_sdwa v30, v30, v97 dst_sel:DWORD dst_unused:UNUSED_PAD src0_sel:BYTE_3 src1_sel:DWORD
	v_pk_fma_f32 v[22:23], v[56:57], v[10:11], v[22:23] op_sel_hi:[1,0,1]
	v_pk_fma_f32 v[12:13], v[58:59], v[14:15], v[12:13] op_sel_hi:[1,0,1]
	v_cvt_f32_f16_sdwa v28, v11 dst_sel:DWORD dst_unused:UNUSED_PAD src0_sel:WORD_1
	v_cvt_f32_f16_sdwa v10, v15 dst_sel:DWORD dst_unused:UNUSED_PAD src0_sel:WORD_1
	v_cvt_f32_i32_e32 v11, v29
	v_cvt_f32_i32_e32 v15, v44
	;; [unrolled: 1-line block ×4, first 2 shown]
	v_cvt_f16_f32_e32 v11, v11
	v_cvt_f16_f32_e32 v15, v15
	;; [unrolled: 1-line block ×4, first 2 shown]
	v_cvt_f32_f16_e32 v31, v11
	v_cvt_f32_f16_e32 v30, v15
	;; [unrolled: 1-line block ×4, first 2 shown]
	v_pk_fma_f32 v[22:23], v[68:69], v[14:15], v[22:23] op_sel_hi:[1,0,1]
	v_pk_fma_f32 v[14:15], v[30:31], v[10:11], v[8:9] op_sel_hi:[1,0,1]
	;; [unrolled: 1-line block ×4, first 2 shown]
	v_sub_u32_sdwa v23, v27, v96 dst_sel:DWORD dst_unused:UNUSED_PAD src0_sel:BYTE_3 src1_sel:DWORD
	v_pk_fma_f32 v[10:11], v[56:57], v[10:11], v[20:21] op_sel_hi:[1,0,1]
	v_sub_u32_sdwa v20, v24, v95 dst_sel:DWORD dst_unused:UNUSED_PAD src0_sel:BYTE_3 src1_sel:DWORD
	v_sub_u32_sdwa v21, v25, v94 dst_sel:DWORD dst_unused:UNUSED_PAD src0_sel:BYTE_3 src1_sel:DWORD
	v_cvt_f32_i32_e32 v23, v23
	v_cvt_f32_i32_e32 v21, v21
	;; [unrolled: 1-line block ×3, first 2 shown]
	v_sub_u32_sdwa v22, v26, v97 dst_sel:DWORD dst_unused:UNUSED_PAD src0_sel:BYTE_3 src1_sel:DWORD
	v_cvt_f16_f32_e32 v23, v23
	v_cvt_f16_f32_e32 v21, v21
	v_cvt_f32_i32_e32 v22, v22
	v_cvt_f16_f32_e32 v20, v20
	v_cvt_f32_f16_e32 v25, v23
	s_waitcnt vmcnt(0)
	v_sub_u32_sdwa v23, v37, v94 dst_sel:DWORD dst_unused:UNUSED_PAD src0_sel:BYTE_0 src1_sel:DWORD
	v_cvt_f32_f16_e32 v21, v21
	v_cvt_f16_f32_e32 v24, v22
	v_cvt_f32_f16_e32 v20, v20
	v_cvt_f32_f16_sdwa v22, v45 dst_sel:DWORD dst_unused:UNUSED_PAD src0_sel:WORD_1
	v_cvt_f32_i32_e32 v23, v23
	v_sub_u32_sdwa v27, v36, v95 dst_sel:DWORD dst_unused:UNUSED_PAD src0_sel:BYTE_0 src1_sel:DWORD
	v_cvt_f32_i32_e32 v28, v27
	v_cvt_f32_f16_sdwa v26, v49 dst_sel:DWORD dst_unused:UNUSED_PAD src0_sel:WORD_1
	v_pk_fma_f32 v[44:45], v[20:21], v[22:23], v[66:67] op_sel_hi:[1,0,1]
	v_cvt_f16_f32_e32 v23, v23
	v_sub_u32_sdwa v29, v38, v97 dst_sel:DWORD dst_unused:UNUSED_PAD src0_sel:BYTE_0 src1_sel:DWORD
	v_cvt_f16_f32_e32 v28, v28
	v_cvt_f32_i32_e32 v29, v29
	v_cvt_f32_f16_e32 v49, v23
	v_sub_u32_sdwa v23, v39, v96 dst_sel:DWORD dst_unused:UNUSED_PAD src0_sel:BYTE_0 src1_sel:DWORD
	v_cvt_f32_i32_e32 v23, v23
	v_cvt_f32_f16_e32 v24, v24
	v_pk_fma_f32 v[20:21], v[20:21], v[26:27], v[62:63] op_sel_hi:[1,0,1]
	v_cvt_f32_f16_e32 v48, v28
	v_cvt_f32_f16_e32 v62, v46
	v_cvt_f16_f32_e32 v23, v23
	v_cvt_f16_f32_e32 v57, v29
	v_cvt_f32_f16_e32 v56, v50
	v_pk_fma_f32 v[26:27], v[24:25], v[26:27], v[64:65] op_sel_hi:[1,0,1]
	v_add_co_u32_e32 v28, vcc, s12, v91
	v_cvt_f32_f16_e32 v65, v23
	v_cvt_f32_f16_e32 v64, v57
	v_pk_fma_f32 v[22:23], v[24:25], v[22:23], v[60:61] op_sel_hi:[1,0,1]
	v_pk_fma_f32 v[24:25], v[48:49], v[62:63], v[44:45] op_sel_hi:[1,0,1]
	v_sub_u32_sdwa v44, v37, v94 dst_sel:DWORD dst_unused:UNUSED_PAD src0_sel:BYTE_1 src1_sel:DWORD
	v_addc_co_u32_e32 v29, vcc, v93, v92, vcc
	v_pk_fma_f32 v[20:21], v[48:49], v[56:57], v[20:21] op_sel_hi:[1,0,1]
	v_cvt_f32_i32_e32 v48, v44
	v_sub_u32_sdwa v44, v36, v95 dst_sel:DWORD dst_unused:UNUSED_PAD src0_sel:BYTE_1 src1_sel:DWORD
	v_cvt_f32_i32_e32 v49, v44
	v_add_co_u32_e32 v44, vcc, s12, v89
	v_addc_co_u32_e32 v45, vcc, v93, v90, vcc
	global_load_dwordx4 v[28:31], v[28:29], off offset:-8
	v_pk_fma_f32 v[26:27], v[64:65], v[56:57], v[26:27] op_sel_hi:[1,0,1]
	global_load_dwordx4 v[56:59], v[44:45], off offset:-8
	v_sub_u32_sdwa v45, v39, v96 dst_sel:DWORD dst_unused:UNUSED_PAD src0_sel:BYTE_1 src1_sel:DWORD
	v_cvt_f16_f32_e32 v44, v48
	v_cvt_f16_f32_e32 v48, v49
	v_cvt_f32_i32_e32 v49, v45
	v_sub_u32_sdwa v45, v38, v97 dst_sel:DWORD dst_unused:UNUSED_PAD src0_sel:BYTE_1 src1_sel:DWORD
	v_cvt_f32_i32_e32 v60, v45
	v_cvt_f32_f16_e32 v45, v44
	v_cvt_f16_f32_e32 v49, v49
	v_cvt_f32_f16_e32 v44, v48
	v_cvt_f16_f32_e32 v60, v60
	v_cvt_f32_f16_sdwa v46, v46 dst_sel:DWORD dst_unused:UNUSED_PAD src0_sel:WORD_1
	v_cvt_f32_f16_sdwa v48, v50 dst_sel:DWORD dst_unused:UNUSED_PAD src0_sel:WORD_1
	v_cvt_f32_f16_e32 v61, v49
	v_cvt_f32_f16_e32 v60, v60
	v_pk_fma_f32 v[22:23], v[64:65], v[62:63], v[22:23] op_sel_hi:[1,0,1]
	v_pk_fma_f32 v[24:25], v[44:45], v[46:47], v[24:25] op_sel_hi:[1,0,1]
	;; [unrolled: 1-line block ×5, first 2 shown]
	v_sub_u32_sdwa v44, v37, v94 dst_sel:DWORD dst_unused:UNUSED_PAD src0_sel:BYTE_2 src1_sel:DWORD
	v_sub_u32_sdwa v45, v36, v95 dst_sel:DWORD dst_unused:UNUSED_PAD src0_sel:BYTE_2 src1_sel:DWORD
	;; [unrolled: 1-line block ×4, first 2 shown]
	v_sub_u32_sdwa v50, v37, v94 dst_sel:DWORD dst_unused:UNUSED_PAD src0_sel:BYTE_3 src1_sel:DWORD
	v_cvt_f32_i32_e32 v37, v44
	v_cvt_f32_i32_e32 v44, v45
	;; [unrolled: 1-line block ×4, first 2 shown]
	v_sub_u32_sdwa v45, v36, v95 dst_sel:DWORD dst_unused:UNUSED_PAD src0_sel:BYTE_3 src1_sel:DWORD
	v_cvt_f16_f32_e32 v36, v37
	v_cvt_f16_f32_e32 v44, v44
	;; [unrolled: 1-line block ×4, first 2 shown]
	v_cvt_f32_f16_e32 v37, v36
	v_cvt_f32_f16_e32 v36, v44
	;; [unrolled: 1-line block ×6, first 2 shown]
	v_sub_u32_sdwa v39, v39, v96 dst_sel:DWORD dst_unused:UNUSED_PAD src0_sel:BYTE_3 src1_sel:DWORD
	v_sub_u32_sdwa v60, v38, v97 dst_sel:DWORD dst_unused:UNUSED_PAD src0_sel:BYTE_3 src1_sel:DWORD
	v_pk_fma_f32 v[24:25], v[36:37], v[44:45], v[24:25] op_sel_hi:[1,0,1]
	v_pk_fma_f32 v[20:21], v[36:37], v[46:47], v[20:21] op_sel_hi:[1,0,1]
	;; [unrolled: 1-line block ×3, first 2 shown]
	v_cvt_f32_i32_e32 v27, v45
	v_cvt_f32_i32_e32 v39, v39
	;; [unrolled: 1-line block ×4, first 2 shown]
	v_cvt_f32_f16_sdwa v38, v47 dst_sel:DWORD dst_unused:UNUSED_PAD src0_sel:WORD_1
	v_cvt_f16_f32_e32 v39, v39
	v_cvt_f16_f32_e32 v45, v45
	v_cvt_f32_f16_sdwa v46, v51 dst_sel:DWORD dst_unused:UNUSED_PAD src0_sel:WORD_1
	v_cvt_f16_f32_e32 v47, v27
	v_cvt_f32_f16_e32 v51, v39
	v_cvt_f32_f16_e32 v50, v45
	v_cvt_f16_f32_e32 v26, v26
	v_pk_fma_f32 v[44:45], v[48:49], v[44:45], v[22:23] op_sel_hi:[1,0,1]
	s_add_u32 s12, s12, s2
	v_pk_fma_f32 v[22:23], v[50:51], v[46:47], v[36:37] op_sel_hi:[1,0,1]
	v_cvt_f32_f16_e32 v27, v26
	v_cvt_f32_f16_e32 v26, v47
	s_addc_u32 s13, s13, s3
	s_add_i32 s4, s4, 64
	s_cmp_ge_i32 s22, s23
	v_pk_fma_f32 v[24:25], v[26:27], v[38:39], v[24:25] op_sel_hi:[1,0,1]
	v_pk_fma_f32 v[26:27], v[26:27], v[46:47], v[20:21] op_sel_hi:[1,0,1]
	v_pk_fma_f32 v[20:21], v[50:51], v[38:39], v[44:45] op_sel_hi:[1,0,1]
	s_waitcnt vmcnt(1)
	v_sub_u32_sdwa v60, v28, v95 dst_sel:DWORD dst_unused:UNUSED_PAD src0_sel:BYTE_0 src1_sel:DWORD
	v_sub_u32_sdwa v63, v28, v95 dst_sel:DWORD dst_unused:UNUSED_PAD src0_sel:BYTE_1 src1_sel:DWORD
	v_sub_u32_sdwa v65, v28, v95 dst_sel:DWORD dst_unused:UNUSED_PAD src0_sel:BYTE_2 src1_sel:DWORD
	v_sub_u32_sdwa v67, v28, v95 dst_sel:DWORD dst_unused:UNUSED_PAD src0_sel:BYTE_3 src1_sel:DWORD
	v_sub_u32_sdwa v68, v30, v97 dst_sel:DWORD dst_unused:UNUSED_PAD src0_sel:BYTE_0 src1_sel:DWORD
	v_sub_u32_sdwa v71, v30, v97 dst_sel:DWORD dst_unused:UNUSED_PAD src0_sel:BYTE_1 src1_sel:DWORD
	v_sub_u32_sdwa v98, v30, v97 dst_sel:DWORD dst_unused:UNUSED_PAD src0_sel:BYTE_2 src1_sel:DWORD
	v_sub_u32_sdwa v37, v30, v97 dst_sel:DWORD dst_unused:UNUSED_PAD src0_sel:BYTE_3 src1_sel:DWORD
	s_waitcnt vmcnt(0)
	v_sub_u32_sdwa v28, v56, v95 dst_sel:DWORD dst_unused:UNUSED_PAD src0_sel:BYTE_0 src1_sel:DWORD
	v_sub_u32_sdwa v30, v57, v94 dst_sel:DWORD dst_unused:UNUSED_PAD src0_sel:BYTE_0 src1_sel:DWORD
	v_sub_u32_sdwa v36, v57, v94 dst_sel:DWORD dst_unused:UNUSED_PAD src0_sel:BYTE_1 src1_sel:DWORD
	v_sub_u32_sdwa v61, v29, v94 dst_sel:DWORD dst_unused:UNUSED_PAD src0_sel:BYTE_0 src1_sel:DWORD
	v_sub_u32_sdwa v62, v29, v94 dst_sel:DWORD dst_unused:UNUSED_PAD src0_sel:BYTE_1 src1_sel:DWORD
	v_sub_u32_sdwa v64, v29, v94 dst_sel:DWORD dst_unused:UNUSED_PAD src0_sel:BYTE_2 src1_sel:DWORD
	v_sub_u32_sdwa v66, v29, v94 dst_sel:DWORD dst_unused:UNUSED_PAD src0_sel:BYTE_3 src1_sel:DWORD
	v_sub_u32_sdwa v29, v56, v95 dst_sel:DWORD dst_unused:UNUSED_PAD src0_sel:BYTE_1 src1_sel:DWORD
	v_cvt_f32_i32_e32 v30, v30
	v_cvt_f32_i32_e32 v28, v28
	v_cvt_f32_i32_e32 v36, v36
	v_cvt_f32_i32_e32 v29, v29
	v_cvt_f16_f32_e32 v30, v30
	v_cvt_f16_f32_e32 v28, v28
	;; [unrolled: 1-line block ×4, first 2 shown]
	v_cvt_f32_f16_e32 v29, v30
	v_cvt_f32_f16_e32 v28, v28
	;; [unrolled: 1-line block ×4, first 2 shown]
	s_waitcnt lgkmcnt(0)
	v_cvt_f32_f16_e32 v36, v40
	v_cvt_f32_f16_e32 v38, v38
	v_cvt_f32_f16_sdwa v32, v32 dst_sel:DWORD dst_unused:UNUSED_PAD src0_sel:WORD_1
	v_cvt_f32_f16_sdwa v40, v40 dst_sel:DWORD dst_unused:UNUSED_PAD src0_sel:WORD_1
	v_sub_u32_sdwa v69, v31, v96 dst_sel:DWORD dst_unused:UNUSED_PAD src0_sel:BYTE_0 src1_sel:DWORD
	v_sub_u32_sdwa v70, v31, v96 dst_sel:DWORD dst_unused:UNUSED_PAD src0_sel:BYTE_1 src1_sel:DWORD
	v_sub_u32_sdwa v93, v31, v96 dst_sel:DWORD dst_unused:UNUSED_PAD src0_sel:BYTE_2 src1_sel:DWORD
	v_sub_u32_sdwa v31, v31, v96 dst_sel:DWORD dst_unused:UNUSED_PAD src0_sel:BYTE_3 src1_sel:DWORD
	v_sub_u32_sdwa v47, v58, v97 dst_sel:DWORD dst_unused:UNUSED_PAD src0_sel:BYTE_0 src1_sel:DWORD
	v_sub_u32_sdwa v50, v59, v96 dst_sel:DWORD dst_unused:UNUSED_PAD src0_sel:BYTE_0 src1_sel:DWORD
	v_sub_u32_sdwa v49, v58, v97 dst_sel:DWORD dst_unused:UNUSED_PAD src0_sel:BYTE_1 src1_sel:DWORD
	v_sub_u32_sdwa v51, v59, v96 dst_sel:DWORD dst_unused:UNUSED_PAD src0_sel:BYTE_1 src1_sel:DWORD
	v_pk_fma_f32 v[44:45], v[28:29], v[30:31], 0 op_sel_hi:[1,0,0]
	v_pk_fma_f32 v[28:29], v[28:29], v[36:37], 0 op_sel_hi:[1,0,0]
	v_cvt_f32_i32_e32 v50, v50
	v_cvt_f32_i32_e32 v47, v47
	v_pk_fma_f32 v[44:45], v[38:39], v[32:33], v[44:45] op_sel_hi:[1,0,1]
	v_pk_fma_f32 v[28:29], v[38:39], v[40:41], v[28:29] op_sel_hi:[1,0,1]
	v_cvt_f32_i32_e32 v38, v51
	v_cvt_f32_i32_e32 v49, v49
	v_cvt_f16_f32_e32 v39, v50
	v_cvt_f16_f32_e32 v47, v47
	v_cvt_f16_f32_e32 v50, v38
	v_cvt_f16_f32_e32 v49, v49
	v_sub_u32_sdwa v46, v56, v95 dst_sel:DWORD dst_unused:UNUSED_PAD src0_sel:BYTE_2 src1_sel:DWORD
	v_cvt_f32_f16_e32 v39, v39
	v_cvt_f32_f16_e32 v38, v47
	;; [unrolled: 1-line block ×3, first 2 shown]
	v_cvt_f32_i32_e32 v51, v46
	v_cvt_f32_f16_e32 v46, v49
	v_sub_u32_sdwa v48, v57, v94 dst_sel:DWORD dst_unused:UNUSED_PAD src0_sel:BYTE_2 src1_sel:DWORD
	v_sub_u32_sdwa v99, v56, v95 dst_sel:DWORD dst_unused:UNUSED_PAD src0_sel:BYTE_3 src1_sel:DWORD
	v_sub_u32_sdwa v56, v57, v94 dst_sel:DWORD dst_unused:UNUSED_PAD src0_sel:BYTE_3 src1_sel:DWORD
	v_sub_u32_sdwa v57, v58, v97 dst_sel:DWORD dst_unused:UNUSED_PAD src0_sel:BYTE_2 src1_sel:DWORD
	v_sub_u32_sdwa v94, v58, v97 dst_sel:DWORD dst_unused:UNUSED_PAD src0_sel:BYTE_3 src1_sel:DWORD
	v_sub_u32_sdwa v58, v59, v96 dst_sel:DWORD dst_unused:UNUSED_PAD src0_sel:BYTE_2 src1_sel:DWORD
	v_cvt_f32_i32_e32 v50, v48
	v_pk_fma_f32 v[48:49], v[38:39], v[30:31], 0 op_sel_hi:[1,0,0]
	v_pk_fma_f32 v[38:39], v[38:39], v[36:37], 0 op_sel_hi:[1,0,0]
	;; [unrolled: 1-line block ×3, first 2 shown]
	v_cvt_f32_i32_e32 v36, v57
	v_cvt_f32_i32_e32 v40, v58
	v_cvt_f16_f32_e32 v30, v50
	v_cvt_f16_f32_e32 v50, v51
	;; [unrolled: 1-line block ×4, first 2 shown]
	v_cvt_f32_i32_e32 v56, v56
	v_cvt_f32_i32_e32 v57, v99
	v_pk_fma_f32 v[48:49], v[46:47], v[32:33], v[48:49] op_sel_hi:[1,0,1]
	v_cvt_f32_f16_e32 v51, v30
	v_cvt_f32_f16_e32 v50, v50
	;; [unrolled: 1-line block ×6, first 2 shown]
	v_cvt_f16_f32_e32 v36, v56
	v_cvt_f16_f32_e32 v40, v57
	v_sub_u32_sdwa v59, v59, v96 dst_sel:DWORD dst_unused:UNUSED_PAD src0_sel:BYTE_3 src1_sel:DWORD
	v_pk_fma_f32 v[44:45], v[50:51], v[30:31], v[44:45] op_sel_hi:[1,0,1]
	v_pk_fma_f32 v[28:29], v[50:51], v[32:33], v[28:29] op_sel_hi:[1,0,1]
	v_cvt_f32_f16_e32 v51, v36
	v_cvt_f32_f16_e32 v50, v40
	v_cvt_f32_i32_e32 v36, v59
	v_cvt_f32_i32_e32 v40, v94
	v_pk_fma_f32 v[48:49], v[46:47], v[30:31], v[48:49] op_sel_hi:[1,0,1]
	v_cvt_f32_f16_sdwa v30, v33 dst_sel:DWORD dst_unused:UNUSED_PAD src0_sel:WORD_1
	v_pk_fma_f32 v[32:33], v[46:47], v[32:33], v[38:39] op_sel_hi:[1,0,1]
	v_cvt_f16_f32_e32 v46, v36
	v_cvt_f16_f32_e32 v40, v40
	v_cvt_f32_f16_sdwa v36, v41 dst_sel:DWORD dst_unused:UNUSED_PAD src0_sel:WORD_1
	v_pk_fma_f32 v[38:39], v[50:51], v[30:31], v[44:45] op_sel_hi:[1,0,1]
	v_cvt_f32_f16_e32 v41, v46
	v_cvt_f32_f16_e32 v40, v40
	v_cvt_f32_i32_e32 v46, v61
	v_cvt_f32_i32_e32 v47, v60
	v_pk_fma_f32 v[28:29], v[50:51], v[36:37], v[28:29] op_sel_hi:[1,0,1]
	v_pk_fma_f32 v[44:45], v[40:41], v[30:31], v[48:49] op_sel_hi:[1,0,1]
	v_cvt_f32_i32_e32 v48, v69
	v_cvt_f32_i32_e32 v49, v68
	v_cvt_f16_f32_e32 v30, v46
	v_cvt_f16_f32_e32 v46, v47
	;; [unrolled: 1-line block ×4, first 2 shown]
	v_cvt_f32_f16_e32 v47, v30
	v_cvt_f32_f16_e32 v46, v46
	;; [unrolled: 1-line block ×6, first 2 shown]
	v_pk_fma_f32 v[32:33], v[40:41], v[36:37], v[32:33] op_sel_hi:[1,0,1]
	v_pk_fma_f32 v[38:39], v[46:47], v[30:31], v[38:39] op_sel_hi:[1,0,1]
	;; [unrolled: 1-line block ×5, first 2 shown]
	v_cvt_f32_i32_e32 v30, v62
	v_cvt_f32_i32_e32 v32, v63
	v_cvt_f32_f16_sdwa v46, v34 dst_sel:DWORD dst_unused:UNUSED_PAD src0_sel:WORD_1
	v_cvt_f32_f16_e32 v48, v35
	v_cvt_f32_f16_sdwa v34, v35 dst_sel:DWORD dst_unused:UNUSED_PAD src0_sel:WORD_1
	v_cvt_f16_f32_e32 v33, v30
	v_cvt_f16_f32_e32 v35, v32
	v_cvt_f32_i32_e32 v49, v67
	v_cvt_f32_f16_sdwa v32, v42 dst_sel:DWORD dst_unused:UNUSED_PAD src0_sel:WORD_1
	v_cvt_f32_f16_e32 v51, v33
	v_cvt_f32_f16_e32 v50, v35
	v_cvt_f32_i32_e32 v33, v64
	v_cvt_f32_i32_e32 v35, v65
	v_cvt_f32_f16_e32 v30, v43
	v_pk_fma_f32 v[38:39], v[50:51], v[46:47], v[38:39] op_sel_hi:[1,0,1]
	v_cvt_f16_f32_e32 v33, v33
	v_cvt_f16_f32_e32 v35, v35
	v_cvt_f32_i32_e32 v47, v66
	v_cvt_f32_f16_sdwa v36, v43 dst_sel:DWORD dst_unused:UNUSED_PAD src0_sel:WORD_1
	v_cvt_f32_f16_e32 v43, v33
	v_cvt_f32_f16_e32 v42, v35
	v_cvt_f16_f32_e32 v33, v47
	v_cvt_f16_f32_e32 v35, v49
	v_cvt_f32_f16_sdwa v57, v54 dst_sel:DWORD dst_unused:UNUSED_PAD src0_sel:WORD_1
	v_cvt_f32_f16_e32 v56, v54
	v_pk_fma_f32 v[40:41], v[50:51], v[32:33], v[40:41] op_sel_hi:[1,0,1]
	v_cvt_f32_f16_e32 v51, v33
	v_cvt_f32_f16_e32 v50, v35
	v_pk_fma_f32 v[38:39], v[42:43], v[48:49], v[38:39] op_sel_hi:[1,0,1]
	v_cvt_f32_i32_e32 v33, v70
	v_pk_mul_f32 v[12:13], v[12:13], v[56:57]
	v_pk_fma_f32 v[38:39], v[50:51], v[34:35], v[38:39] op_sel_hi:[1,0,1]
	v_cvt_f32_i32_e32 v35, v71
	v_pk_mul_f32 v[18:19], v[18:19], v[56:57]
	v_cvt_f16_f32_e32 v13, v13
	v_cvt_f16_f32_e32 v12, v12
	v_cvt_f16_f32_e32 v19, v19
	v_cvt_f16_f32_e32 v18, v18
	v_pk_fma_f32 v[40:41], v[42:43], v[30:31], v[40:41] op_sel_hi:[1,0,1]
	v_cvt_f32_i32_e32 v42, v93
	v_cvt_f32_i32_e32 v43, v98
	v_cvt_f16_f32_e32 v33, v33
	v_cvt_f16_f32_e32 v35, v35
	v_pk_mul_f32 v[14:15], v[14:15], v[56:57]
	v_pk_mul_f32 v[24:25], v[24:25], v[56:57]
	v_pack_b32_f16 v12, v12, v13
	v_cvt_f16_f32_e32 v13, v15
	v_cvt_f16_f32_e32 v14, v14
	v_pk_mul_f32 v[16:17], v[16:17], v[56:57]
	v_pack_b32_f16 v18, v18, v19
	v_cvt_f16_f32_e32 v15, v25
	v_cvt_f16_f32_e32 v19, v24
	v_cvt_f16_f32_e32 v47, v42
	v_cvt_f16_f32_e32 v49, v43
	v_cvt_f32_f16_e32 v43, v33
	v_cvt_f32_f16_e32 v42, v35
	v_cvt_f16_f32_e32 v33, v17
	v_cvt_f16_f32_e32 v35, v16
	v_pk_mul_f32 v[26:27], v[26:27], v[56:57]
	v_pk_add_f16 v18, v74, v18
	v_pack_b32_f16 v13, v14, v13
	v_pk_add_f16 v13, v18, v13
	v_pack_b32_f16 v14, v19, v15
	v_cvt_f16_f32_e32 v15, v27
	v_cvt_f16_f32_e32 v18, v26
	v_pack_b32_f16 v33, v35, v33
	v_pk_add_f16 v33, v84, v33
	v_pk_add_f16 v12, v33, v12
	;; [unrolled: 1-line block ×3, first 2 shown]
	v_pack_b32_f16 v12, v18, v15
	v_pk_add_f16 v15, v13, v12
	v_cvt_f32_f16_sdwa v13, v55 dst_sel:DWORD dst_unused:UNUSED_PAD src0_sel:WORD_1
	v_cvt_f32_f16_e32 v12, v55
	v_pk_fma_f32 v[40:41], v[50:51], v[36:37], v[40:41] op_sel_hi:[1,0,1]
	v_pk_mul_f32 v[38:39], v[38:39], v[56:57]
	v_pk_mul_f32 v[16:17], v[40:41], v[56:57]
	v_cvt_f16_f32_e32 v19, v39
	v_cvt_f16_f32_e32 v24, v38
	;; [unrolled: 1-line block ×4, first 2 shown]
	v_pk_mul_f32 v[6:7], v[6:7], v[12:13]
	v_cvt_f16_f32_e32 v7, v7
	v_cvt_f16_f32_e32 v6, v6
	v_pack_b32_f16 v18, v24, v19
	v_pk_add_f16 v84, v14, v18
	v_pack_b32_f16 v14, v16, v17
	v_pk_add_f16 v74, v15, v14
	v_pack_b32_f16 v14, v6, v7
	v_pk_mul_f32 v[6:7], v[10:11], v[12:13]
	v_cvt_f16_f32_e32 v10, v7
	v_cvt_f16_f32_e32 v11, v6
	v_pk_mul_f32 v[6:7], v[22:23], v[12:13]
	v_cvt_f16_f32_e32 v7, v7
	v_cvt_f16_f32_e32 v6, v6
	v_pack_b32_f16 v10, v11, v10
	v_cvt_f32_i32_e32 v11, v37
	v_pk_add_f16 v14, v53, v14
	v_pack_b32_f16 v6, v6, v7
	v_cvt_f32_i32_e32 v7, v31
	v_pk_mul_f32 v[4:5], v[4:5], v[12:13]
	v_pk_add_f16 v10, v14, v10
	v_cvt_f16_f32_e32 v14, v5
	v_cvt_f16_f32_e32 v5, v7
	;; [unrolled: 1-line block ×4, first 2 shown]
	v_pk_add_f16 v10, v10, v6
	v_cvt_f32_f16_e32 v51, v47
	v_cvt_f32_f16_e32 v4, v7
	v_pk_mul_f32 v[6:7], v[8:9], v[12:13]
	v_cvt_f32_f16_e32 v50, v49
	v_cvt_f16_f32_e32 v8, v7
	v_cvt_f16_f32_e32 v9, v6
	v_pk_mul_f32 v[6:7], v[20:21], v[12:13]
	v_cvt_f32_f16_e32 v5, v5
	v_cvt_f16_f32_e32 v7, v7
	v_cvt_f16_f32_e32 v6, v6
	v_pk_fma_f32 v[40:41], v[42:43], v[46:47], v[44:45] op_sel_hi:[1,0,1]
	v_pk_fma_f32 v[40:41], v[50:51], v[48:49], v[40:41] op_sel_hi:[1,0,1]
	v_pack_b32_f16 v11, v11, v14
	v_pack_b32_f16 v8, v9, v8
	;; [unrolled: 1-line block ×3, first 2 shown]
	v_pk_fma_f32 v[6:7], v[4:5], v[34:35], v[40:41] op_sel_hi:[1,0,1]
	v_pk_add_f16 v11, v75, v11
	v_pk_mul_f32 v[6:7], v[6:7], v[12:13]
	v_pk_add_f16 v8, v11, v8
	v_cvt_f16_f32_e32 v11, v7
	v_cvt_f16_f32_e32 v14, v6
	v_pk_fma_f32 v[6:7], v[42:43], v[32:33], v[28:29] op_sel_hi:[1,0,1]
	v_pk_fma_f32 v[6:7], v[50:51], v[30:31], v[6:7] op_sel_hi:[1,0,1]
	;; [unrolled: 1-line block ×3, first 2 shown]
	v_pk_mul_f32 v[4:5], v[4:5], v[12:13]
	v_cvt_f16_f32_e32 v5, v5
	v_cvt_f16_f32_e32 v4, v4
	v_pk_add_f16 v6, v8, v9
	v_pack_b32_f16 v7, v14, v11
	v_pk_add_f16 v75, v6, v7
	v_pack_b32_f16 v4, v4, v5
	v_pk_add_f16 v53, v10, v4
	s_cbranch_scc1 .LBB22_12
.LBB22_10:                              ; =>This Inner Loop Header: Depth=1
	s_cmp_lg_u32 s22, s8
	s_cbranch_scc1 .LBB22_9
; %bb.11:                               ;   in Loop: Header=BB22_10 Depth=1
	s_add_i32 s6, s6, 1
	s_mul_i32 s1, s6, s0
	s_ashr_i32 s9, s1, 31
	s_lshr_b32 s9, s9, 30
	s_add_i32 s9, s1, s9
	s_ashr_i32 s9, s9, 2
	v_add_u32_e32 v0, s9, v72
	v_ashrrev_i32_e32 v1, 31, v0
	v_lshlrev_b64 v[0:1], 2, v[0:1]
	v_mov_b32_e32 v2, s15
	v_add_co_u32_e32 v0, vcc, s14, v0
	v_addc_co_u32_e32 v1, vcc, v2, v1, vcc
	global_load_dword v3, v[0:1], off
	v_add_u32_e32 v0, s1, v52
	v_ashrrev_i32_e32 v1, 31, v0
	v_lshlrev_b64 v[0:1], 1, v[0:1]
	v_mov_b32_e32 v2, s17
	v_add_co_u32_e32 v0, vcc, s16, v0
	v_addc_co_u32_e32 v1, vcc, v2, v1, vcc
	global_load_dwordx2 v[54:55], v[0:1], off
	s_add_i32 s8, s8, s5
	s_waitcnt vmcnt(1)
	v_and_b32_e32 v0, 0xff, v3
	v_bfe_u32 v1, v3, 8, 8
	v_bfe_u32 v2, v3, 16, 8
	v_lshrrev_b32_e32 v3, 24, v3
	s_branch .LBB22_9
.LBB22_12:
	s_mul_i32 s7, s7, s0
	v_add_u32_e32 v0, s7, v52
	v_ashrrev_i32_e32 v1, 31, v0
	v_lshlrev_b64 v[2:3], 1, v[0:1]
	v_mov_b32_e32 v1, s19
	v_add_co_u32_e32 v2, vcc, s18, v2
	v_addc_co_u32_e32 v3, vcc, v1, v3, vcc
	global_load_dword v5, v[2:3], off
	s_mov_b64 s[2:3], 0
.LBB22_13:                              ; =>This Inner Loop Header: Depth=1
	s_waitcnt vmcnt(0)
	v_pk_add_f16 v4, v84, v5
	global_atomic_cmpswap v1, v[2:3], v[4:5], off glc
	s_waitcnt vmcnt(0)
	v_cmp_eq_u32_e32 vcc, v5, v1
	s_or_b64 s[2:3], vcc, s[2:3]
	v_mov_b32_e32 v5, v1
	s_andn2_b64 exec, exec, s[2:3]
	s_cbranch_execnz .LBB22_13
; %bb.14:
	s_or_b64 exec, exec, s[2:3]
	global_load_dword v5, v[2:3], off offset:4
	s_mov_b64 s[2:3], 0
.LBB22_15:                              ; =>This Inner Loop Header: Depth=1
	s_waitcnt vmcnt(0)
	v_pk_add_f16 v4, v75, v5
	global_atomic_cmpswap v1, v[2:3], v[4:5], off offset:4 glc
	s_waitcnt vmcnt(0)
	v_cmp_eq_u32_e32 vcc, v5, v1
	s_or_b64 s[2:3], vcc, s[2:3]
	v_mov_b32_e32 v5, v1
	s_andn2_b64 exec, exec, s[2:3]
	s_cbranch_execnz .LBB22_15
; %bb.16:
	s_or_b64 exec, exec, s[2:3]
	v_add_u32_e32 v0, s0, v0
	v_ashrrev_i32_e32 v1, 31, v0
	v_lshlrev_b64 v[0:1], 1, v[0:1]
	v_mov_b32_e32 v2, s19
	v_add_co_u32_e32 v0, vcc, s18, v0
	v_addc_co_u32_e32 v1, vcc, v2, v1, vcc
	global_load_dword v3, v[0:1], off
	s_mov_b64 s[0:1], 0
.LBB22_17:                              ; =>This Inner Loop Header: Depth=1
	s_waitcnt vmcnt(0)
	v_pk_add_f16 v2, v74, v3
	global_atomic_cmpswap v2, v[0:1], v[2:3], off glc
	s_waitcnt vmcnt(0)
	v_cmp_eq_u32_e32 vcc, v3, v2
	s_or_b64 s[0:1], vcc, s[0:1]
	v_mov_b32_e32 v3, v2
	s_andn2_b64 exec, exec, s[0:1]
	s_cbranch_execnz .LBB22_17
; %bb.18:
	s_or_b64 exec, exec, s[0:1]
	global_load_dword v3, v[0:1], off offset:4
	s_mov_b64 s[0:1], 0
.LBB22_19:                              ; =>This Inner Loop Header: Depth=1
	s_waitcnt vmcnt(0)
	v_pk_add_f16 v2, v53, v3
	global_atomic_cmpswap v2, v[0:1], v[2:3], off offset:4 glc
	s_waitcnt vmcnt(0)
	v_cmp_eq_u32_e32 vcc, v3, v2
	s_or_b64 s[0:1], vcc, s[0:1]
	v_mov_b32_e32 v3, v2
	s_andn2_b64 exec, exec, s[0:1]
	s_cbranch_execnz .LBB22_19
.LBB22_20:
	s_endpgm
	.section	.rodata,"a",@progbits
	.p2align	6, 0x0
	.amdhsa_kernel _ZN4vllm4gptq33gemm_half_q_half_gptq_8bit_kernelILb1ELi2EEEvPK6__halfPKjS6_S4_PS2_iiiibPKi
		.amdhsa_group_segment_fixed_size 512
		.amdhsa_private_segment_fixed_size 0
		.amdhsa_kernarg_size 72
		.amdhsa_user_sgpr_count 6
		.amdhsa_user_sgpr_private_segment_buffer 1
		.amdhsa_user_sgpr_dispatch_ptr 0
		.amdhsa_user_sgpr_queue_ptr 0
		.amdhsa_user_sgpr_kernarg_segment_ptr 1
		.amdhsa_user_sgpr_dispatch_id 0
		.amdhsa_user_sgpr_flat_scratch_init 0
		.amdhsa_user_sgpr_kernarg_preload_length 0
		.amdhsa_user_sgpr_kernarg_preload_offset 0
		.amdhsa_user_sgpr_private_segment_size 0
		.amdhsa_uses_dynamic_stack 0
		.amdhsa_system_sgpr_private_segment_wavefront_offset 0
		.amdhsa_system_sgpr_workgroup_id_x 1
		.amdhsa_system_sgpr_workgroup_id_y 1
		.amdhsa_system_sgpr_workgroup_id_z 1
		.amdhsa_system_sgpr_workgroup_info 0
		.amdhsa_system_vgpr_workitem_id 0
		.amdhsa_next_free_vgpr 102
		.amdhsa_next_free_sgpr 26
		.amdhsa_accum_offset 104
		.amdhsa_reserve_vcc 1
		.amdhsa_reserve_flat_scratch 0
		.amdhsa_float_round_mode_32 0
		.amdhsa_float_round_mode_16_64 0
		.amdhsa_float_denorm_mode_32 3
		.amdhsa_float_denorm_mode_16_64 3
		.amdhsa_dx10_clamp 1
		.amdhsa_ieee_mode 1
		.amdhsa_fp16_overflow 0
		.amdhsa_tg_split 0
		.amdhsa_exception_fp_ieee_invalid_op 0
		.amdhsa_exception_fp_denorm_src 0
		.amdhsa_exception_fp_ieee_div_zero 0
		.amdhsa_exception_fp_ieee_overflow 0
		.amdhsa_exception_fp_ieee_underflow 0
		.amdhsa_exception_fp_ieee_inexact 0
		.amdhsa_exception_int_div_zero 0
	.end_amdhsa_kernel
	.section	.text._ZN4vllm4gptq33gemm_half_q_half_gptq_8bit_kernelILb1ELi2EEEvPK6__halfPKjS6_S4_PS2_iiiibPKi,"axG",@progbits,_ZN4vllm4gptq33gemm_half_q_half_gptq_8bit_kernelILb1ELi2EEEvPK6__halfPKjS6_S4_PS2_iiiibPKi,comdat
.Lfunc_end22:
	.size	_ZN4vllm4gptq33gemm_half_q_half_gptq_8bit_kernelILb1ELi2EEEvPK6__halfPKjS6_S4_PS2_iiiibPKi, .Lfunc_end22-_ZN4vllm4gptq33gemm_half_q_half_gptq_8bit_kernelILb1ELi2EEEvPK6__halfPKjS6_S4_PS2_iiiibPKi
                                        ; -- End function
	.section	.AMDGPU.csdata,"",@progbits
; Kernel info:
; codeLenInByte = 6196
; NumSgprs: 30
; NumVgprs: 102
; NumAgprs: 0
; TotalNumVgprs: 102
; ScratchSize: 0
; MemoryBound: 0
; FloatMode: 240
; IeeeMode: 1
; LDSByteSize: 512 bytes/workgroup (compile time only)
; SGPRBlocks: 3
; VGPRBlocks: 12
; NumSGPRsForWavesPerEU: 30
; NumVGPRsForWavesPerEU: 102
; AccumOffset: 104
; Occupancy: 4
; WaveLimiterHint : 0
; COMPUTE_PGM_RSRC2:SCRATCH_EN: 0
; COMPUTE_PGM_RSRC2:USER_SGPR: 6
; COMPUTE_PGM_RSRC2:TRAP_HANDLER: 0
; COMPUTE_PGM_RSRC2:TGID_X_EN: 1
; COMPUTE_PGM_RSRC2:TGID_Y_EN: 1
; COMPUTE_PGM_RSRC2:TGID_Z_EN: 1
; COMPUTE_PGM_RSRC2:TIDIG_COMP_CNT: 0
; COMPUTE_PGM_RSRC3_GFX90A:ACCUM_OFFSET: 25
; COMPUTE_PGM_RSRC3_GFX90A:TG_SPLIT: 0
	.section	.text._ZN4vllm4gptq33gemm_half_q_half_gptq_2bit_kernelILb1ELi3EEEvPK6__halfPKjS6_S4_PS2_iiiibPKi,"axG",@progbits,_ZN4vllm4gptq33gemm_half_q_half_gptq_2bit_kernelILb1ELi3EEEvPK6__halfPKjS6_S4_PS2_iiiibPKi,comdat
	.protected	_ZN4vllm4gptq33gemm_half_q_half_gptq_2bit_kernelILb1ELi3EEEvPK6__halfPKjS6_S4_PS2_iiiibPKi ; -- Begin function _ZN4vllm4gptq33gemm_half_q_half_gptq_2bit_kernelILb1ELi3EEEvPK6__halfPKjS6_S4_PS2_iiiibPKi
	.globl	_ZN4vllm4gptq33gemm_half_q_half_gptq_2bit_kernelILb1ELi3EEEvPK6__halfPKjS6_S4_PS2_iiiibPKi
	.p2align	8
	.type	_ZN4vllm4gptq33gemm_half_q_half_gptq_2bit_kernelILb1ELi3EEEvPK6__halfPKjS6_S4_PS2_iiiibPKi,@function
_ZN4vllm4gptq33gemm_half_q_half_gptq_2bit_kernelILb1ELi3EEEvPK6__halfPKjS6_S4_PS2_iiiibPKi: ; @_ZN4vllm4gptq33gemm_half_q_half_gptq_2bit_kernelILb1ELi3EEEvPK6__halfPKjS6_S4_PS2_iiiibPKi
; %bb.0:
	s_load_dwordx8 s[12:19], s[4:5], 0x8
	s_load_dwordx4 s[20:23], s[4:5], 0x2c
	s_lshl_b32 s24, s8, 7
	s_add_i32 s0, s24, 0x80
	v_cvt_f64_u32_e32 v[2:3], s0
	s_mul_i32 s7, s7, 3
	s_waitcnt lgkmcnt(0)
	v_cvt_f64_i32_e32 v[4:5], s21
	v_min_f64 v[2:3], v[2:3], v[4:5]
	v_cvt_i32_f64_e32 v1, v[2:3]
	v_add_u32_e32 v2, s24, v0
	v_readfirstlane_b32 s25, v1
	v_cmp_lt_u32_e32 vcc, v2, v1
	s_and_saveexec_b64 s[2:3], vcc
	s_cbranch_execz .LBB23_8
; %bb.1:
	s_load_dwordx2 s[0:1], s[4:5], 0x40
	s_load_dwordx2 s[8:9], s[4:5], 0x0
	v_mov_b32_e32 v3, 0
	v_lshlrev_b64 v[4:5], 2, v[2:3]
	v_pk_mov_b32 v[6:7], v[2:3], v[2:3] op_sel:[0,1]
	s_waitcnt lgkmcnt(0)
	s_cmp_lg_u64 s[0:1], 0
	v_mov_b32_e32 v1, s1
	v_add_co_u32_e32 v4, vcc, s0, v4
	s_cselect_b64 s[4:5], -1, 0
	s_cmp_eq_u64 s[0:1], 0
	v_addc_co_u32_e32 v5, vcc, v1, v5, vcc
	s_cbranch_scc1 .LBB23_3
; %bb.2:
	global_load_dword v6, v[4:5], off
	s_waitcnt vmcnt(0)
	v_ashrrev_i32_e32 v7, 31, v6
.LBB23_3:
	s_mul_i32 s10, s7, s21
	s_ashr_i32 s11, s10, 31
	s_lshl_b64 s[0:1], s[10:11], 1
	s_add_u32 s0, s8, s0
	s_addc_u32 s1, s9, s1
	v_lshlrev_b64 v[6:7], 1, v[6:7]
	v_mov_b32_e32 v1, s1
	v_add_co_u32_e32 v6, vcc, s0, v6
	v_addc_co_u32_e32 v7, vcc, v1, v7, vcc
	global_load_ushort v6, v[6:7], off
	v_lshlrev_b32_e32 v1, 1, v0
	v_cndmask_b32_e64 v7, 0, 1, s[4:5]
	v_cmp_ne_u32_e64 s[0:1], 1, v7
	s_andn2_b64 vcc, exec, s[4:5]
	s_waitcnt vmcnt(0)
	ds_write_b16 v1, v6
	v_pk_mov_b32 v[6:7], v[2:3], v[2:3] op_sel:[0,1]
	s_cbranch_vccnz .LBB23_5
; %bb.4:
	global_load_dword v6, v[4:5], off
	s_waitcnt vmcnt(0)
	v_ashrrev_i32_e32 v7, 31, v6
.LBB23_5:
	s_add_i32 s4, s10, s21
	s_ashr_i32 s5, s4, 31
	s_lshl_b64 s[10:11], s[4:5], 1
	s_add_u32 s5, s8, s10
	s_addc_u32 s10, s9, s11
	v_lshlrev_b64 v[6:7], 1, v[6:7]
	v_mov_b32_e32 v8, s10
	v_add_co_u32_e32 v6, vcc, s5, v6
	v_addc_co_u32_e32 v7, vcc, v8, v7, vcc
	global_load_ushort v6, v[6:7], off
	s_and_b64 vcc, exec, s[0:1]
	s_waitcnt vmcnt(0)
	ds_write_b16 v1, v6 offset:256
	s_cbranch_vccnz .LBB23_7
; %bb.6:
	global_load_dword v2, v[4:5], off
	s_waitcnt vmcnt(0)
	v_ashrrev_i32_e32 v3, 31, v2
.LBB23_7:
	s_add_i32 s0, s4, s21
	s_ashr_i32 s1, s0, 31
	s_lshl_b64 s[0:1], s[0:1], 1
	s_add_u32 s0, s8, s0
	s_addc_u32 s1, s9, s1
	v_lshlrev_b64 v[2:3], 1, v[2:3]
	v_mov_b32_e32 v4, s1
	v_add_co_u32_e32 v2, vcc, s0, v2
	v_addc_co_u32_e32 v3, vcc, v4, v3, vcc
	global_load_ushort v2, v[2:3], off
	s_waitcnt vmcnt(0)
	ds_write_b16 v1, v2 offset:512
.LBB23_8:
	s_or_b64 exec, exec, s[2:3]
	v_lshlrev_b32_e32 v1, 2, v0
	v_lshl_add_u32 v4, s6, 9, v1
	v_cmp_gt_i32_e32 vcc, s20, v4
	s_and_saveexec_b64 s[0:1], vcc
	s_cbranch_execz .LBB23_26
; %bb.9:
	s_abs_i32 s0, s22
	v_cvt_f32_u32_e32 v1, s0
	s_mov_b32 s2, 0
	v_mov_b32_e32 v16, 0
	v_mov_b32_e32 v15, 0
	v_rcp_iflag_f32_e32 v1, v1
	v_mov_b32_e32 v13, 0
	v_mov_b32_e32 v12, 0
	s_cmp_ge_i32 s24, s25
	v_mul_f32_e32 v1, 0x4f7ffffe, v1
	v_cvt_u32_f32_e32 v1, v1
	v_mov_b32_e32 v11, 0
	v_mov_b32_e32 v10, 0
	s_waitcnt lgkmcnt(0)
	v_readfirstlane_b32 s1, v1
	s_barrier
	s_cbranch_scc1 .LBB23_14
; %bb.10:
	s_sub_i32 s6, 0, s0
	s_mul_i32 s6, s6, s1
	s_mul_hi_u32 s6, s1, s6
	s_abs_i32 s5, s21
	s_add_i32 s1, s1, s6
	s_ashr_i32 s3, s21, 31
	s_ashr_i32 s4, s22, 31
	s_mul_hi_u32 s1, s5, s1
	s_xor_b32 s3, s3, s4
	s_mul_i32 s4, s1, s0
	s_sub_i32 s4, s5, s4
	s_add_i32 s5, s1, 1
	s_sub_i32 s6, s4, s0
	s_cmp_ge_u32 s4, s0
	s_cselect_b32 s1, s5, s1
	s_cselect_b32 s4, s6, s4
	s_add_i32 s5, s1, 1
	s_cmp_ge_u32 s4, s0
	s_cselect_b32 s0, s5, s1
	s_xor_b32 s0, s0, s3
	s_sub_i32 s3, s0, s3
	v_cvt_f32_u32_e32 v1, s3
	s_bitcmp1_b32 s23, 0
	s_cselect_b64 s[0:1], -1, 0
	s_sub_i32 s4, 0, s3
	v_rcp_iflag_f32_e32 v1, v1
	s_xor_b64 s[0:1], s[0:1], -1
	v_ashrrev_i32_e32 v5, 31, v4
	v_lshrrev_b32_e32 v2, 28, v5
	v_mul_f32_e32 v1, 0x4f7ffffe, v1
	v_cvt_u32_f32_e32 v1, v1
	v_add_u32_e32 v2, v4, v2
	v_ashrrev_i32_e32 v14, 4, v2
	v_mov_b32_e32 v10, 0
	v_readfirstlane_b32 s5, v1
	s_mul_i32 s4, s4, s5
	s_mul_hi_u32 s4, s5, s4
	s_add_i32 s5, s5, s4
	s_mul_hi_u32 s4, s24, s5
	s_mul_i32 s5, s4, s3
	s_sub_i32 s5, s24, s5
	s_add_i32 s6, s4, 1
	s_sub_i32 s8, s5, s3
	s_cmp_ge_u32 s5, s3
	s_cselect_b32 s4, s6, s4
	s_cselect_b32 s5, s8, s5
	s_add_i32 s6, s4, 1
	s_cmp_ge_u32 s5, s3
	s_cselect_b32 s4, s6, s4
	s_mul_i32 s5, s4, s20
	s_ashr_i32 s6, s5, 31
	s_lshr_b32 s6, s6, 28
	v_add_u32_e32 v2, s5, v4
	s_add_i32 s5, s5, s6
	s_ashr_i32 s5, s5, 4
	v_add_u32_e32 v6, s5, v14
	v_ashrrev_i32_e32 v7, 31, v6
	v_lshlrev_b64 v[6:7], 2, v[6:7]
	v_ashrrev_i32_e32 v3, 31, v2
	v_mov_b32_e32 v1, s15
	v_add_co_u32_e32 v6, vcc, s14, v6
	v_lshlrev_b64 v[2:3], 1, v[2:3]
	v_addc_co_u32_e32 v7, vcc, v1, v7, vcc
	global_load_dword v16, v[6:7], off
	v_mov_b32_e32 v1, s17
	v_add_co_u32_e32 v2, vcc, s16, v2
	v_addc_co_u32_e32 v3, vcc, v1, v3, vcc
	global_load_dwordx2 v[6:7], v[2:3], off
	v_lshlrev_b32_e32 v2, 3, v0
	v_lshlrev_b64 v[0:1], 2, v[4:5]
	v_cndmask_b32_e64 v5, 0, 1, s[0:1]
	s_lshr_b32 s0, s24, 4
	s_mul_i32 s0, s0, s20
	s_ashr_i32 s1, s0, 31
	s_add_i32 s10, s3, s24
	s_ashr_i32 s21, s20, 31
	s_lshl_b64 s[0:1], s[0:1], 2
	s_add_u32 s11, s12, s0
	s_addc_u32 s12, s13, s1
	v_mov_b32_e32 v3, s12
	v_add_co_u32_e32 v0, vcc, s11, v0
	v_addc_co_u32_e32 v1, vcc, v3, v1, vcc
	v_and_b32_e32 v17, 24, v2
	v_add_co_u32_e32 v8, vcc, 8, v0
	s_movk_i32 s5, 0x3400
	s_movk_i32 s6, 0x2c00
	;; [unrolled: 1-line block ×3, first 2 shown]
	s_mov_b32 s9, 0x7060302
	v_mov_b32_e32 v11, 0
	v_mov_b32_e32 v12, 0
	;; [unrolled: 1-line block ×4, first 2 shown]
	s_lshl_b64 s[0:1], s[20:21], 2
	v_addc_co_u32_e32 v9, vcc, 0, v1, vcc
	s_waitcnt vmcnt(1)
	v_lshrrev_b32_e32 v0, v2, v16
	v_bfe_u32 v18, v16, v17, 2
	v_bfe_u32 v19, v0, 2, 2
	;; [unrolled: 1-line block ×4, first 2 shown]
	v_mov_b32_e32 v16, 0
	s_branch .LBB23_12
.LBB23_11:                              ;   in Loop: Header=BB23_12 Depth=1
	global_load_dwordx4 v[0:3], v[8:9], off offset:-8
	v_add_u32_e32 v22, v18, v5
	v_add_u32_e32 v23, v19, v5
	v_or_b32_e32 v26, 0xffffe400, v22
	v_cvt_f32_i32_e32 v22, v22
	v_or_b32_e32 v27, 0xffffe400, v23
	v_cvt_f32_i32_e32 v23, v23
	v_add_u32_e32 v24, v20, v5
	v_or_b32_e32 v28, 0xffffe400, v24
	v_cvt_f32_i32_e32 v24, v24
	v_cvt_f16_f32_e32 v22, v22
	v_cvt_f16_f32_e32 v23, v23
	v_add_u32_e32 v25, v21, v5
	v_or_b32_e32 v29, 0xffffe400, v25
	v_cvt_f32_i32_e32 v25, v25
	v_cvt_f16_f32_e32 v24, v24
	v_sub_f16_e32 v30, 0xdc00, v22
	v_sub_f16_e32 v32, 0xdc00, v23
	;; [unrolled: 1-line block ×6, first 2 shown]
	v_cvt_f16_f32_e32 v25, v25
	v_sub_f16_e32 v34, 0xdc00, v24
	v_sub_f16_e32 v35, 0xd400, v24
	;; [unrolled: 1-line block ×6, first 2 shown]
	s_add_i32 s24, s24, 16
	v_add_co_u32_e32 v8, vcc, s0, v8
	s_waitcnt vmcnt(0)
	v_and_b32_e32 v38, 0x30003, v0
	v_and_b32_e32 v39, 0xc000c, v0
	;; [unrolled: 1-line block ×4, first 2 shown]
	v_lshrrev_b32_e32 v0, 8, v0
	v_and_b32_e32 v42, 0x30003, v1
	v_and_b32_e32 v43, 0xc000c, v1
	;; [unrolled: 1-line block ×4, first 2 shown]
	v_lshrrev_b32_e32 v1, 8, v1
	v_and_b32_e32 v50, 0xc000c, v0
	v_and_b32_e32 v52, 0x30003, v1
	;; [unrolled: 1-line block ×5, first 2 shown]
	v_or_b32_e32 v39, 0x64006400, v39
	v_and_b32_e32 v49, 0x30003, v0
	v_and_b32_e32 v51, 0x300030, v0
	;; [unrolled: 1-line block ×3, first 2 shown]
	v_or_b32_e32 v50, 0x64006400, v50
	v_or_b32_e32 v1, 0x64006400, v1
	v_and_b32_e32 v46, 0x30003, v2
	v_and_b32_e32 v47, 0xc000c, v2
	;; [unrolled: 1-line block ×3, first 2 shown]
	v_or_b32_e32 v38, 0x64006400, v38
	v_or_b32_e32 v41, 0x64006400, v41
	;; [unrolled: 1-line block ×5, first 2 shown]
	v_pk_fma_f16 v39, v39, s5, v30 op_sel_hi:[1,0,0]
	v_pk_fma_f16 v30, v50, s5, v30 op_sel_hi:[1,0,0]
	;; [unrolled: 1-line block ×3, first 2 shown]
	v_and_b32_e32 v1, 0xc000c0, v2
	v_lshrrev_b32_e32 v2, 8, v2
	v_pk_add_f16 v38, v26, v38 op_sel_hi:[0,1]
	v_pk_fma_f16 v41, v41, s8, v22 op_sel_hi:[1,0,0]
	v_pk_fma_f16 v45, v45, s8, v23 op_sel_hi:[1,0,0]
	v_pk_add_f16 v26, v26, v49 op_sel_hi:[0,1]
	v_pk_fma_f16 v49, v0, s8, v22 op_sel_hi:[1,0,0]
	v_or_b32_e32 v0, 0x64006400, v48
	v_and_b32_e32 v22, 0x30003, v2
	v_and_b32_e32 v23, 0xc000c, v2
	;; [unrolled: 1-line block ×4, first 2 shown]
	v_or_b32_e32 v40, 0x64006400, v40
	v_or_b32_e32 v42, 0x64006400, v42
	;; [unrolled: 1-line block ×10, first 2 shown]
	v_pk_fma_f16 v40, v40, s6, v31 op_sel_hi:[1,0,0]
	v_or_b32_e32 v53, 0x64006400, v53
	v_pk_add_f16 v42, v27, v42 op_sel_hi:[0,1]
	v_pk_fma_f16 v31, v51, s6, v31 op_sel_hi:[1,0,0]
	v_pk_add_f16 v27, v27, v52 op_sel_hi:[0,1]
	v_pk_add_f16 v46, v28, v46 op_sel_hi:[0,1]
	v_pk_fma_f16 v51, v0, s6, v35 op_sel_hi:[1,0,0]
	v_pk_fma_f16 v52, v1, s8, v24 op_sel_hi:[1,0,0]
	v_pk_add_f16 v28, v28, v22 op_sel_hi:[0,1]
	v_pk_fma_f16 v35, v48, s6, v35 op_sel_hi:[1,0,0]
	v_pk_fma_f16 v48, v2, s8, v24 op_sel_hi:[1,0,0]
	v_and_b32_e32 v0, 0x30003, v3
	v_and_b32_e32 v1, 0xc000c, v3
	;; [unrolled: 1-line block ×4, first 2 shown]
	v_lshrrev_b32_e32 v3, 8, v3
	v_pk_fma_f16 v43, v43, s5, v32 op_sel_hi:[1,0,0]
	v_pk_fma_f16 v32, v53, s5, v32 op_sel_hi:[1,0,0]
	v_and_b32_e32 v53, 0x300030, v3
	v_or_b32_e32 v2, 0x64006400, v2
	v_or_b32_e32 v53, 0x64006400, v53
	;; [unrolled: 1-line block ×6, first 2 shown]
	v_pk_fma_f16 v56, v2, s6, v37 op_sel_hi:[1,0,0]
	v_pk_fma_f16 v37, v53, s6, v37 op_sel_hi:[1,0,0]
	v_mov_b32_e32 v53, s2
	v_pk_fma_f16 v44, v44, s6, v33 op_sel_hi:[1,0,0]
	v_pk_fma_f16 v33, v54, s6, v33 op_sel_hi:[1,0,0]
	v_pk_add_f16 v54, v29, v0 op_sel_hi:[0,1]
	v_pk_fma_f16 v55, v1, s5, v36 op_sel_hi:[1,0,0]
	ds_read2_b32 v[0:1], v53 offset1:1
	v_or_b32_e32 v47, 0x64006400, v47
	v_or_b32_e32 v23, 0x64006400, v23
	v_pk_fma_f16 v47, v47, s5, v34 op_sel_hi:[1,0,0]
	v_pk_fma_f16 v34, v23, s5, v34 op_sel_hi:[1,0,0]
	v_and_b32_e32 v23, 0x30003, v3
	v_and_b32_e32 v24, 0xc000c, v3
	;; [unrolled: 1-line block ×3, first 2 shown]
	v_or_b32_e32 v22, 0x64006400, v22
	v_or_b32_e32 v23, 0x64006400, v23
	;; [unrolled: 1-line block ×4, first 2 shown]
	v_pk_fma_f16 v57, v22, s8, v25 op_sel_hi:[1,0,0]
	v_pk_add_f16 v29, v29, v23 op_sel_hi:[0,1]
	v_pk_fma_f16 v36, v24, s5, v36 op_sel_hi:[1,0,0]
	v_pk_fma_f16 v58, v3, s8, v25 op_sel_hi:[1,0,0]
	ds_read2_b32 v[2:3], v53 offset0:2 offset1:3
	ds_read2_b32 v[22:23], v53 offset0:4 offset1:5
	;; [unrolled: 1-line block ×3, first 2 shown]
	s_waitcnt lgkmcnt(3)
	v_pk_fma_f16 v59, v38, v0, 0
	v_pk_fma_f16 v60, v42, v0, 0
	v_pk_fma_f16 v59, v39, v1, v59
	v_pk_fma_f16 v60, v43, v1, v60
	s_waitcnt lgkmcnt(2)
	v_pk_fma_f16 v59, v40, v2, v59
	v_pk_fma_f16 v60, v44, v2, v60
	v_pk_fma_f16 v59, v41, v3, v59
	v_pk_fma_f16 v60, v45, v3, v60
	;; [unrolled: 5-line block ×4, first 2 shown]
	v_pack_b32_f16 v61, v59, v60
	v_perm_b32 v59, v60, v59, s9
	v_pk_add_f16 v59, v61, v59
	v_pk_fma_f16 v16, v59, v6, v16
	v_pk_fma_f16 v59, v46, v0, 0
	v_pk_fma_f16 v0, v54, v0, 0
	v_pk_fma_f16 v59, v47, v1, v59
	v_pk_fma_f16 v0, v55, v1, v0
	v_pk_fma_f16 v59, v51, v2, v59
	v_pk_fma_f16 v0, v56, v2, v0
	v_pk_fma_f16 v59, v52, v3, v59
	v_pk_fma_f16 v0, v57, v3, v0
	v_pk_fma_f16 v59, v28, v22, v59
	v_pk_fma_f16 v0, v29, v22, v0
	v_pk_fma_f16 v59, v34, v23, v59
	v_pk_fma_f16 v0, v36, v23, v0
	v_pk_fma_f16 v59, v35, v24, v59
	v_pk_fma_f16 v0, v37, v24, v0
	v_pk_fma_f16 v59, v48, v25, v59
	v_pk_fma_f16 v0, v58, v25, v0
	v_pack_b32_f16 v1, v59, v0
	v_perm_b32 v0, v0, v59, s9
	v_pk_add_f16 v2, v1, v0
	ds_read2_b32 v[0:1], v53 offset0:64 offset1:65
	v_pk_fma_f16 v15, v2, v7, v15
	ds_read2_b32 v[2:3], v53 offset0:66 offset1:67
	ds_read2_b32 v[22:23], v53 offset0:68 offset1:69
	ds_read2_b32 v[24:25], v53 offset0:70 offset1:71
	s_add_i32 s2, s2, 32
	s_cmp_ge_i32 s24, s25
	s_waitcnt lgkmcnt(3)
	v_pk_fma_f16 v59, v38, v0, 0
	v_pk_fma_f16 v60, v42, v0, 0
	v_pk_fma_f16 v59, v39, v1, v59
	v_pk_fma_f16 v60, v43, v1, v60
	s_waitcnt lgkmcnt(2)
	v_pk_fma_f16 v59, v40, v2, v59
	v_pk_fma_f16 v60, v44, v2, v60
	v_pk_fma_f16 v59, v41, v3, v59
	v_pk_fma_f16 v60, v45, v3, v60
	s_waitcnt lgkmcnt(1)
	v_pk_fma_f16 v59, v26, v22, v59
	v_pk_fma_f16 v60, v27, v22, v60
	v_pk_fma_f16 v59, v30, v23, v59
	v_pk_fma_f16 v60, v32, v23, v60
	s_waitcnt lgkmcnt(0)
	v_pk_fma_f16 v59, v31, v24, v59
	v_pk_fma_f16 v60, v33, v24, v60
	v_pk_fma_f16 v59, v49, v25, v59
	v_pk_fma_f16 v60, v50, v25, v60
	v_pack_b32_f16 v61, v59, v60
	v_perm_b32 v59, v60, v59, s9
	v_pk_add_f16 v59, v61, v59
	v_pk_fma_f16 v13, v59, v6, v13
	v_pk_fma_f16 v59, v46, v0, 0
	;; [unrolled: 1-line block ×17, first 2 shown]
	v_pack_b32_f16 v1, v59, v0
	v_perm_b32 v0, v0, v59, s9
	v_pk_add_f16 v2, v1, v0
	ds_read2_b32 v[0:1], v53 offset0:128 offset1:129
	v_pk_fma_f16 v12, v2, v7, v12
	ds_read2_b32 v[2:3], v53 offset0:130 offset1:131
	ds_read2_b32 v[22:23], v53 offset0:132 offset1:133
	;; [unrolled: 1-line block ×3, first 2 shown]
	s_waitcnt lgkmcnt(3)
	v_pk_fma_f16 v38, v38, v0, 0
	v_pk_fma_f16 v38, v39, v1, v38
	s_waitcnt lgkmcnt(2)
	v_pk_fma_f16 v38, v40, v2, v38
	v_pk_fma_f16 v38, v41, v3, v38
	;; [unrolled: 3-line block ×3, first 2 shown]
	v_pk_fma_f16 v30, v42, v0, 0
	v_pk_fma_f16 v30, v43, v1, v30
	;; [unrolled: 1-line block ×6, first 2 shown]
	s_waitcnt lgkmcnt(0)
	v_pk_fma_f16 v26, v31, v24, v26
	v_pk_fma_f16 v27, v33, v24, v27
	;; [unrolled: 1-line block ×4, first 2 shown]
	v_pack_b32_f16 v30, v26, v27
	v_perm_b32 v26, v27, v26, s9
	v_pk_add_f16 v26, v30, v26
	v_pk_fma_f16 v11, v26, v6, v11
	v_pk_fma_f16 v26, v46, v0, 0
	;; [unrolled: 1-line block ×17, first 2 shown]
	v_pack_b32_f16 v1, v26, v0
	v_perm_b32 v0, v0, v26, s9
	v_pk_add_f16 v0, v1, v0
	v_pk_fma_f16 v10, v0, v7, v10
	v_mov_b32_e32 v0, s1
	v_addc_co_u32_e32 v9, vcc, v9, v0, vcc
	s_cbranch_scc1 .LBB23_14
.LBB23_12:                              ; =>This Inner Loop Header: Depth=1
	s_cmp_lg_u32 s24, s10
	s_cbranch_scc1 .LBB23_11
; %bb.13:                               ;   in Loop: Header=BB23_12 Depth=1
	s_add_i32 s4, s4, 1
	s_mul_i32 s11, s4, s20
	s_ashr_i32 s12, s11, 31
	s_lshr_b32 s12, s12, 28
	s_add_i32 s12, s11, s12
	s_ashr_i32 s12, s12, 4
	v_add_u32_e32 v0, s12, v14
	v_ashrrev_i32_e32 v1, 31, v0
	v_lshlrev_b64 v[0:1], 2, v[0:1]
	v_mov_b32_e32 v2, s15
	v_add_co_u32_e32 v0, vcc, s14, v0
	v_addc_co_u32_e32 v1, vcc, v2, v1, vcc
	global_load_dword v2, v[0:1], off
	v_add_u32_e32 v0, s11, v4
	v_ashrrev_i32_e32 v1, 31, v0
	v_lshlrev_b64 v[0:1], 1, v[0:1]
	v_mov_b32_e32 v3, s17
	v_add_co_u32_e32 v0, vcc, s16, v0
	v_addc_co_u32_e32 v1, vcc, v3, v1, vcc
	global_load_dwordx2 v[6:7], v[0:1], off
	s_add_i32 s10, s10, s3
	s_waitcnt vmcnt(1)
	v_lshrrev_b32_e32 v0, v17, v2
	v_bfe_u32 v18, v2, v17, 2
	v_bfe_u32 v19, v0, 2, 2
	;; [unrolled: 1-line block ×4, first 2 shown]
	s_branch .LBB23_11
.LBB23_14:
	s_mul_i32 s7, s7, s20
	v_add_u32_e32 v0, s7, v4
	v_ashrrev_i32_e32 v1, 31, v0
	v_lshlrev_b64 v[2:3], 1, v[0:1]
	v_mov_b32_e32 v1, s19
	v_add_co_u32_e32 v2, vcc, s18, v2
	v_addc_co_u32_e32 v3, vcc, v1, v3, vcc
	global_load_dword v5, v[2:3], off
	s_mov_b64 s[0:1], 0
.LBB23_15:                              ; =>This Inner Loop Header: Depth=1
	s_waitcnt vmcnt(0)
	v_pk_add_f16 v4, v16, v5
	global_atomic_cmpswap v1, v[2:3], v[4:5], off glc
	s_waitcnt vmcnt(0)
	v_cmp_eq_u32_e32 vcc, v5, v1
	s_or_b64 s[0:1], vcc, s[0:1]
	v_mov_b32_e32 v5, v1
	s_andn2_b64 exec, exec, s[0:1]
	s_cbranch_execnz .LBB23_15
; %bb.16:
	s_or_b64 exec, exec, s[0:1]
	global_load_dword v5, v[2:3], off offset:4
	s_mov_b64 s[0:1], 0
.LBB23_17:                              ; =>This Inner Loop Header: Depth=1
	s_waitcnt vmcnt(0)
	v_pk_add_f16 v4, v15, v5
	global_atomic_cmpswap v1, v[2:3], v[4:5], off offset:4 glc
	s_waitcnt vmcnt(0)
	v_cmp_eq_u32_e32 vcc, v5, v1
	s_or_b64 s[0:1], vcc, s[0:1]
	v_mov_b32_e32 v5, v1
	s_andn2_b64 exec, exec, s[0:1]
	s_cbranch_execnz .LBB23_17
; %bb.18:
	s_or_b64 exec, exec, s[0:1]
	v_add_u32_e32 v0, s20, v0
	v_ashrrev_i32_e32 v1, 31, v0
	v_lshlrev_b64 v[2:3], 1, v[0:1]
	v_mov_b32_e32 v1, s19
	v_add_co_u32_e32 v2, vcc, s18, v2
	v_addc_co_u32_e32 v3, vcc, v1, v3, vcc
	global_load_dword v5, v[2:3], off
	s_mov_b64 s[0:1], 0
.LBB23_19:                              ; =>This Inner Loop Header: Depth=1
	s_waitcnt vmcnt(0)
	v_pk_add_f16 v4, v13, v5
	global_atomic_cmpswap v1, v[2:3], v[4:5], off glc
	s_waitcnt vmcnt(0)
	v_cmp_eq_u32_e32 vcc, v5, v1
	s_or_b64 s[0:1], vcc, s[0:1]
	v_mov_b32_e32 v5, v1
	s_andn2_b64 exec, exec, s[0:1]
	s_cbranch_execnz .LBB23_19
; %bb.20:
	s_or_b64 exec, exec, s[0:1]
	global_load_dword v5, v[2:3], off offset:4
	s_mov_b64 s[0:1], 0
.LBB23_21:                              ; =>This Inner Loop Header: Depth=1
	s_waitcnt vmcnt(0)
	v_pk_add_f16 v4, v12, v5
	global_atomic_cmpswap v1, v[2:3], v[4:5], off offset:4 glc
	s_waitcnt vmcnt(0)
	v_cmp_eq_u32_e32 vcc, v5, v1
	s_or_b64 s[0:1], vcc, s[0:1]
	v_mov_b32_e32 v5, v1
	s_andn2_b64 exec, exec, s[0:1]
	s_cbranch_execnz .LBB23_21
; %bb.22:
	s_or_b64 exec, exec, s[0:1]
	v_add_u32_e32 v0, s20, v0
	v_ashrrev_i32_e32 v1, 31, v0
	v_lshlrev_b64 v[0:1], 1, v[0:1]
	v_mov_b32_e32 v2, s19
	v_add_co_u32_e32 v0, vcc, s18, v0
	v_addc_co_u32_e32 v1, vcc, v2, v1, vcc
	global_load_dword v3, v[0:1], off
	s_mov_b64 s[0:1], 0
.LBB23_23:                              ; =>This Inner Loop Header: Depth=1
	s_waitcnt vmcnt(0)
	v_pk_add_f16 v2, v11, v3
	global_atomic_cmpswap v2, v[0:1], v[2:3], off glc
	s_waitcnt vmcnt(0)
	v_cmp_eq_u32_e32 vcc, v3, v2
	s_or_b64 s[0:1], vcc, s[0:1]
	v_mov_b32_e32 v3, v2
	s_andn2_b64 exec, exec, s[0:1]
	s_cbranch_execnz .LBB23_23
; %bb.24:
	s_or_b64 exec, exec, s[0:1]
	global_load_dword v3, v[0:1], off offset:4
	s_mov_b64 s[0:1], 0
.LBB23_25:                              ; =>This Inner Loop Header: Depth=1
	s_waitcnt vmcnt(0)
	v_pk_add_f16 v2, v10, v3
	global_atomic_cmpswap v2, v[0:1], v[2:3], off offset:4 glc
	s_waitcnt vmcnt(0)
	v_cmp_eq_u32_e32 vcc, v3, v2
	s_or_b64 s[0:1], vcc, s[0:1]
	v_mov_b32_e32 v3, v2
	s_andn2_b64 exec, exec, s[0:1]
	s_cbranch_execnz .LBB23_25
.LBB23_26:
	s_endpgm
	.section	.rodata,"a",@progbits
	.p2align	6, 0x0
	.amdhsa_kernel _ZN4vllm4gptq33gemm_half_q_half_gptq_2bit_kernelILb1ELi3EEEvPK6__halfPKjS6_S4_PS2_iiiibPKi
		.amdhsa_group_segment_fixed_size 768
		.amdhsa_private_segment_fixed_size 0
		.amdhsa_kernarg_size 72
		.amdhsa_user_sgpr_count 6
		.amdhsa_user_sgpr_private_segment_buffer 1
		.amdhsa_user_sgpr_dispatch_ptr 0
		.amdhsa_user_sgpr_queue_ptr 0
		.amdhsa_user_sgpr_kernarg_segment_ptr 1
		.amdhsa_user_sgpr_dispatch_id 0
		.amdhsa_user_sgpr_flat_scratch_init 0
		.amdhsa_user_sgpr_kernarg_preload_length 0
		.amdhsa_user_sgpr_kernarg_preload_offset 0
		.amdhsa_user_sgpr_private_segment_size 0
		.amdhsa_uses_dynamic_stack 0
		.amdhsa_system_sgpr_private_segment_wavefront_offset 0
		.amdhsa_system_sgpr_workgroup_id_x 1
		.amdhsa_system_sgpr_workgroup_id_y 1
		.amdhsa_system_sgpr_workgroup_id_z 1
		.amdhsa_system_sgpr_workgroup_info 0
		.amdhsa_system_vgpr_workitem_id 0
		.amdhsa_next_free_vgpr 62
		.amdhsa_next_free_sgpr 26
		.amdhsa_accum_offset 64
		.amdhsa_reserve_vcc 1
		.amdhsa_reserve_flat_scratch 0
		.amdhsa_float_round_mode_32 0
		.amdhsa_float_round_mode_16_64 0
		.amdhsa_float_denorm_mode_32 3
		.amdhsa_float_denorm_mode_16_64 3
		.amdhsa_dx10_clamp 1
		.amdhsa_ieee_mode 1
		.amdhsa_fp16_overflow 0
		.amdhsa_tg_split 0
		.amdhsa_exception_fp_ieee_invalid_op 0
		.amdhsa_exception_fp_denorm_src 0
		.amdhsa_exception_fp_ieee_div_zero 0
		.amdhsa_exception_fp_ieee_overflow 0
		.amdhsa_exception_fp_ieee_underflow 0
		.amdhsa_exception_fp_ieee_inexact 0
		.amdhsa_exception_int_div_zero 0
	.end_amdhsa_kernel
	.section	.text._ZN4vllm4gptq33gemm_half_q_half_gptq_2bit_kernelILb1ELi3EEEvPK6__halfPKjS6_S4_PS2_iiiibPKi,"axG",@progbits,_ZN4vllm4gptq33gemm_half_q_half_gptq_2bit_kernelILb1ELi3EEEvPK6__halfPKjS6_S4_PS2_iiiibPKi,comdat
.Lfunc_end23:
	.size	_ZN4vllm4gptq33gemm_half_q_half_gptq_2bit_kernelILb1ELi3EEEvPK6__halfPKjS6_S4_PS2_iiiibPKi, .Lfunc_end23-_ZN4vllm4gptq33gemm_half_q_half_gptq_2bit_kernelILb1ELi3EEEvPK6__halfPKjS6_S4_PS2_iiiibPKi
                                        ; -- End function
	.section	.AMDGPU.csdata,"",@progbits
; Kernel info:
; codeLenInByte = 3680
; NumSgprs: 30
; NumVgprs: 62
; NumAgprs: 0
; TotalNumVgprs: 62
; ScratchSize: 0
; MemoryBound: 0
; FloatMode: 240
; IeeeMode: 1
; LDSByteSize: 768 bytes/workgroup (compile time only)
; SGPRBlocks: 3
; VGPRBlocks: 7
; NumSGPRsForWavesPerEU: 30
; NumVGPRsForWavesPerEU: 62
; AccumOffset: 64
; Occupancy: 8
; WaveLimiterHint : 0
; COMPUTE_PGM_RSRC2:SCRATCH_EN: 0
; COMPUTE_PGM_RSRC2:USER_SGPR: 6
; COMPUTE_PGM_RSRC2:TRAP_HANDLER: 0
; COMPUTE_PGM_RSRC2:TGID_X_EN: 1
; COMPUTE_PGM_RSRC2:TGID_Y_EN: 1
; COMPUTE_PGM_RSRC2:TGID_Z_EN: 1
; COMPUTE_PGM_RSRC2:TIDIG_COMP_CNT: 0
; COMPUTE_PGM_RSRC3_GFX90A:ACCUM_OFFSET: 15
; COMPUTE_PGM_RSRC3_GFX90A:TG_SPLIT: 0
	.section	.text._ZN4vllm4gptq33gemm_half_q_half_gptq_3bit_kernelILb1ELi3EEEvPK6__halfPKjS6_S4_PS2_iiiibPKi,"axG",@progbits,_ZN4vllm4gptq33gemm_half_q_half_gptq_3bit_kernelILb1ELi3EEEvPK6__halfPKjS6_S4_PS2_iiiibPKi,comdat
	.protected	_ZN4vllm4gptq33gemm_half_q_half_gptq_3bit_kernelILb1ELi3EEEvPK6__halfPKjS6_S4_PS2_iiiibPKi ; -- Begin function _ZN4vllm4gptq33gemm_half_q_half_gptq_3bit_kernelILb1ELi3EEEvPK6__halfPKjS6_S4_PS2_iiiibPKi
	.globl	_ZN4vllm4gptq33gemm_half_q_half_gptq_3bit_kernelILb1ELi3EEEvPK6__halfPKjS6_S4_PS2_iiiibPKi
	.p2align	8
	.type	_ZN4vllm4gptq33gemm_half_q_half_gptq_3bit_kernelILb1ELi3EEEvPK6__halfPKjS6_S4_PS2_iiiibPKi,@function
_ZN4vllm4gptq33gemm_half_q_half_gptq_3bit_kernelILb1ELi3EEEvPK6__halfPKjS6_S4_PS2_iiiibPKi: ; @_ZN4vllm4gptq33gemm_half_q_half_gptq_3bit_kernelILb1ELi3EEEvPK6__halfPKjS6_S4_PS2_iiiibPKi
; %bb.0:
	s_load_dwordx8 s[12:19], s[4:5], 0x8
	s_load_dwordx4 s[20:23], s[4:5], 0x2c
	s_lshl_b32 s25, s8, 7
	s_add_i32 s0, s25, 0x80
	v_cvt_f64_u32_e32 v[2:3], s0
	s_mul_i32 s24, s7, 3
	s_waitcnt lgkmcnt(0)
	v_cvt_f64_i32_e32 v[4:5], s21
	v_min_f64 v[2:3], v[2:3], v[4:5]
	v_cvt_i32_f64_e32 v1, v[2:3]
	v_add_u32_e32 v2, s25, v0
	v_readfirstlane_b32 s26, v1
	v_cmp_lt_u32_e32 vcc, v2, v1
	s_and_saveexec_b64 s[2:3], vcc
	s_cbranch_execz .LBB24_8
; %bb.1:
	s_load_dwordx2 s[0:1], s[4:5], 0x40
	s_load_dwordx2 s[8:9], s[4:5], 0x0
	v_mov_b32_e32 v3, 0
	v_lshlrev_b64 v[4:5], 2, v[2:3]
	v_pk_mov_b32 v[6:7], v[2:3], v[2:3] op_sel:[0,1]
	s_waitcnt lgkmcnt(0)
	s_cmp_lg_u64 s[0:1], 0
	v_mov_b32_e32 v1, s1
	v_add_co_u32_e32 v4, vcc, s0, v4
	s_cselect_b64 s[4:5], -1, 0
	s_cmp_eq_u64 s[0:1], 0
	v_addc_co_u32_e32 v5, vcc, v1, v5, vcc
	s_cbranch_scc1 .LBB24_3
; %bb.2:
	global_load_dword v6, v[4:5], off
	s_waitcnt vmcnt(0)
	v_ashrrev_i32_e32 v7, 31, v6
.LBB24_3:
	s_mul_i32 s10, s24, s21
	s_ashr_i32 s11, s10, 31
	s_lshl_b64 s[0:1], s[10:11], 1
	s_add_u32 s0, s8, s0
	s_addc_u32 s1, s9, s1
	v_lshlrev_b64 v[6:7], 1, v[6:7]
	v_mov_b32_e32 v1, s1
	v_add_co_u32_e32 v6, vcc, s0, v6
	v_addc_co_u32_e32 v7, vcc, v1, v7, vcc
	global_load_ushort v6, v[6:7], off
	v_lshlrev_b32_e32 v1, 1, v0
	v_cndmask_b32_e64 v7, 0, 1, s[4:5]
	v_cmp_ne_u32_e64 s[0:1], 1, v7
	s_andn2_b64 vcc, exec, s[4:5]
	s_waitcnt vmcnt(0)
	ds_write_b16 v1, v6
	v_pk_mov_b32 v[6:7], v[2:3], v[2:3] op_sel:[0,1]
	s_cbranch_vccnz .LBB24_5
; %bb.4:
	global_load_dword v6, v[4:5], off
	s_waitcnt vmcnt(0)
	v_ashrrev_i32_e32 v7, 31, v6
.LBB24_5:
	s_add_i32 s4, s10, s21
	s_ashr_i32 s5, s4, 31
	s_lshl_b64 s[10:11], s[4:5], 1
	s_add_u32 s5, s8, s10
	s_addc_u32 s7, s9, s11
	v_lshlrev_b64 v[6:7], 1, v[6:7]
	v_mov_b32_e32 v8, s7
	v_add_co_u32_e32 v6, vcc, s5, v6
	v_addc_co_u32_e32 v7, vcc, v8, v7, vcc
	global_load_ushort v6, v[6:7], off
	s_and_b64 vcc, exec, s[0:1]
	s_waitcnt vmcnt(0)
	ds_write_b16 v1, v6 offset:256
	s_cbranch_vccnz .LBB24_7
; %bb.6:
	global_load_dword v2, v[4:5], off
	s_waitcnt vmcnt(0)
	v_ashrrev_i32_e32 v3, 31, v2
.LBB24_7:
	s_add_i32 s0, s4, s21
	s_ashr_i32 s1, s0, 31
	s_lshl_b64 s[0:1], s[0:1], 1
	s_add_u32 s0, s8, s0
	s_addc_u32 s1, s9, s1
	v_lshlrev_b64 v[2:3], 1, v[2:3]
	v_mov_b32_e32 v4, s1
	v_add_co_u32_e32 v2, vcc, s0, v2
	v_addc_co_u32_e32 v3, vcc, v4, v3, vcc
	global_load_ushort v2, v[2:3], off
	s_waitcnt vmcnt(0)
	ds_write_b16 v1, v2 offset:512
.LBB24_8:
	s_or_b64 exec, exec, s[2:3]
	v_lshlrev_b32_e32 v0, 2, v0
	v_lshl_add_u32 v12, s6, 9, v0
	v_cmp_gt_i32_e32 vcc, s20, v12
	s_and_saveexec_b64 s[0:1], vcc
	s_cbranch_execz .LBB24_58
; %bb.9:
	s_abs_i32 s0, s22
	v_cvt_f32_u32_e32 v1, s0
	s_sub_i32 s3, 0, s0
	s_abs_i32 s2, s21
	s_xor_b32 s1, s21, s22
	v_rcp_iflag_f32_e32 v1, v1
	s_ashr_i32 s1, s1, 31
	v_and_b32_e32 v2, 28, v0
	v_cmp_lt_u32_e32 vcc, 4, v2
	v_mul_f32_e32 v1, 0x4f7ffffe, v1
	v_cvt_u32_f32_e32 v1, v1
	s_waitcnt lgkmcnt(0)
	s_barrier
	v_readfirstlane_b32 s4, v1
	s_mul_i32 s3, s3, s4
	s_mul_hi_u32 s3, s4, s3
	s_add_i32 s4, s4, s3
	s_mul_hi_u32 s3, s2, s4
	s_mul_i32 s4, s3, s0
	s_sub_i32 s2, s2, s4
	s_add_i32 s5, s3, 1
	s_sub_i32 s4, s2, s0
	s_cmp_ge_u32 s2, s0
	s_cselect_b32 s3, s5, s3
	s_cselect_b32 s2, s4, s2
	s_add_i32 s4, s3, 1
	s_cmp_ge_u32 s2, s0
	s_cselect_b32 s0, s4, s3
	s_xor_b32 s0, s0, s1
	s_sub_i32 s27, s0, s1
	v_cvt_f32_u32_e32 v1, s27
	s_sub_i32 s0, 0, s27
                                        ; implicit-def: $vgpr3
                                        ; implicit-def: $vgpr4
	v_rcp_iflag_f32_e32 v1, v1
	v_mul_f32_e32 v1, 0x4f7ffffe, v1
	v_cvt_u32_f32_e32 v1, v1
	v_readfirstlane_b32 s1, v1
	s_mul_i32 s0, s0, s1
	s_mul_hi_u32 s0, s1, s0
	s_add_i32 s1, s1, s0
	s_mul_hi_u32 s0, s25, s1
	s_mul_i32 s1, s0, s27
	s_sub_i32 s1, s25, s1
	s_add_i32 s2, s0, 1
	s_sub_i32 s3, s1, s27
	s_cmp_ge_u32 s1, s27
	s_cselect_b32 s0, s2, s0
	s_cselect_b32 s1, s3, s1
	s_add_i32 s2, s0, 1
	s_cmp_ge_u32 s1, s27
	s_cselect_b32 s28, s2, s0
	s_and_saveexec_b64 s[0:1], vcc
	s_xor_b64 s[2:3], exec, s[0:1]
	s_cbranch_execz .LBB24_23
; %bb.10:
	v_cmp_ne_u32_e64 s[0:1], 8, v2
                                        ; implicit-def: $vgpr3
                                        ; implicit-def: $vgpr4
	s_and_saveexec_b64 s[4:5], s[0:1]
	s_xor_b64 s[4:5], exec, s[4:5]
	s_cbranch_execz .LBB24_20
; %bb.11:
	v_cmp_lt_u32_e64 s[0:1], 16, v2
                                        ; implicit-def: $vgpr3
                                        ; implicit-def: $vgpr4
	s_and_saveexec_b64 s[6:7], s[0:1]
	s_xor_b64 s[6:7], exec, s[6:7]
	s_cbranch_execz .LBB24_17
; %bb.12:
	s_mul_i32 s8, s28, s20
	v_lshl_add_u32 v0, v12, 1, v12
	s_ashr_i32 s0, s8, 31
	v_ashrrev_i32_e32 v1, 31, v0
	s_lshr_b32 s0, s0, 27
	v_lshrrev_b32_e32 v1, 27, v1
	s_add_i32 s0, s8, s0
	v_add_u32_e32 v0, v0, v1
	s_ashr_i32 s0, s0, 5
	v_ashrrev_i32_e32 v0, 5, v0
	v_mad_u64_u32 v[0:1], s[0:1], s0, 3, v[0:1]
	v_ashrrev_i32_e32 v1, 31, v0
	v_lshlrev_b64 v[0:1], 2, v[0:1]
	v_mov_b32_e32 v3, s15
	v_add_co_u32_e64 v0, s[0:1], s14, v0
	v_addc_co_u32_e64 v1, s[0:1], v3, v1, s[0:1]
	global_load_dword v5, v[0:1], off
	v_cmp_ne_u32_e64 s[0:1], 20, v2
                                        ; implicit-def: $vgpr3
	s_and_saveexec_b64 s[10:11], s[0:1]
	s_xor_b64 s[0:1], exec, s[10:11]
	s_cbranch_execz .LBB24_14
; %bb.13:
	v_not_b32_e32 v0, 63
	v_mad_u32_u24 v0, v2, 3, v0
	s_waitcnt vmcnt(0)
	v_lshrrev_b32_e32 v3, v0, v5
                                        ; implicit-def: $vgpr0_vgpr1
                                        ; implicit-def: $vgpr5
.LBB24_14:
	s_or_saveexec_b64 s[0:1], s[0:1]
	v_mov_b32_e32 v4, s8
	s_xor_b64 exec, exec, s[0:1]
	s_cbranch_execz .LBB24_16
; %bb.15:
	global_load_dword v0, v[0:1], off offset:4
	v_mov_b32_e32 v4, s8
	s_waitcnt vmcnt(0)
	v_alignbit_b32 v0, v0, v5, 28
	v_and_b32_e32 v3, 0xfff, v0
.LBB24_16:
	s_or_b64 exec, exec, s[0:1]
.LBB24_17:
	s_andn2_saveexec_b64 s[6:7], s[6:7]
	s_cbranch_execz .LBB24_19
; %bb.18:
	s_mul_i32 s8, s28, s20
	v_lshl_add_u32 v0, v12, 1, v12
	s_ashr_i32 s0, s8, 31
	v_ashrrev_i32_e32 v1, 31, v0
	s_lshr_b32 s0, s0, 27
	v_lshrrev_b32_e32 v1, 27, v1
	s_add_i32 s0, s8, s0
	v_add_u32_e32 v0, v0, v1
	s_ashr_i32 s0, s0, 5
	v_ashrrev_i32_e32 v0, 5, v0
	v_mad_u64_u32 v[0:1], s[0:1], s0, 3, v[0:1]
	v_ashrrev_i32_e32 v1, 31, v0
	v_lshlrev_b64 v[0:1], 2, v[0:1]
	v_mov_b32_e32 v3, s15
	v_add_co_u32_e64 v0, s[0:1], s14, v0
	v_addc_co_u32_e64 v1, s[0:1], v3, v1, s[0:1]
	global_load_dword v0, v[0:1], off
	v_not_b32_e32 v1, 31
	v_mad_u32_u24 v1, v2, 3, v1
	v_mov_b32_e32 v4, s8
	s_waitcnt vmcnt(0)
	v_lshrrev_b32_e32 v3, v1, v0
.LBB24_19:
	s_or_b64 exec, exec, s[6:7]
.LBB24_20:
	s_andn2_saveexec_b64 s[4:5], s[4:5]
	s_cbranch_execz .LBB24_22
; %bb.21:
	s_mul_i32 s6, s28, s20
	v_lshl_add_u32 v0, v12, 1, v12
	s_ashr_i32 s0, s6, 31
	v_ashrrev_i32_e32 v1, 31, v0
	s_lshr_b32 s0, s0, 27
	v_lshrrev_b32_e32 v1, 27, v1
	s_add_i32 s0, s6, s0
	v_add_u32_e32 v0, v0, v1
	s_ashr_i32 s0, s0, 5
	v_ashrrev_i32_e32 v0, 5, v0
	v_mad_u64_u32 v[0:1], s[0:1], s0, 3, v[0:1]
	v_ashrrev_i32_e32 v1, 31, v0
	v_lshlrev_b64 v[0:1], 2, v[0:1]
	v_mov_b32_e32 v3, s15
	v_add_co_u32_e64 v0, s[0:1], s14, v0
	v_addc_co_u32_e64 v1, s[0:1], v3, v1, s[0:1]
	global_load_dwordx2 v[0:1], v[0:1], off
	s_mov_b32 s0, 0x2010007
	v_mov_b32_e32 v4, s6
	s_waitcnt vmcnt(0)
	v_perm_b32 v0, v0, v1, s0
	v_and_b32_e32 v3, 0xfff, v0
.LBB24_22:
	s_or_b64 exec, exec, s[4:5]
.LBB24_23:
	s_or_saveexec_b64 s[2:3], s[2:3]
	v_lshl_add_u32 v0, v12, 1, v12
	v_ashrrev_i32_e32 v1, 31, v0
	v_mul_u32_u24_e32 v20, 3, v2
	s_xor_b64 exec, exec, s[2:3]
	s_cbranch_execz .LBB24_25
; %bb.24:
	s_mul_i32 s4, s28, s20
	s_ashr_i32 s0, s4, 31
	s_lshr_b32 s0, s0, 27
	v_lshrrev_b32_e32 v3, 27, v1
	s_add_i32 s0, s4, s0
	v_add_u32_e32 v3, v0, v3
	s_ashr_i32 s0, s0, 5
	v_ashrrev_i32_e32 v4, 5, v3
	s_waitcnt vmcnt(0)
	v_mad_u64_u32 v[4:5], s[0:1], s0, 3, v[4:5]
	v_ashrrev_i32_e32 v5, 31, v4
	v_lshlrev_b64 v[4:5], 2, v[4:5]
	v_mov_b32_e32 v3, s15
	v_add_co_u32_e64 v4, s[0:1], s14, v4
	v_addc_co_u32_e64 v5, s[0:1], v3, v5, s[0:1]
	global_load_dword v3, v[4:5], off
	v_mov_b32_e32 v4, s4
	s_waitcnt vmcnt(0)
	v_lshrrev_b32_e32 v3, v20, v3
.LBB24_25:
	s_or_b64 exec, exec, s[2:3]
	s_cmp_ge_i32 s25, s26
	v_mov_b32_e32 v24, 0
	v_mov_b32_e32 v23, 0
	;; [unrolled: 1-line block ×6, first 2 shown]
	s_cbranch_scc1 .LBB24_46
; %bb.26:
	v_add_u32_e32 v4, v4, v12
	s_waitcnt vmcnt(0)
	v_ashrrev_i32_e32 v5, 31, v4
	v_lshlrev_b64 v[4:5], 1, v[4:5]
	v_mov_b32_e32 v6, s17
	v_add_co_u32_e64 v4, s[0:1], s16, v4
	v_addc_co_u32_e64 v5, s[0:1], v6, v5, s[0:1]
	global_load_dwordx2 v[18:19], v[4:5], off
	s_lshr_b32 s0, s25, 5
	s_mul_i32 s0, s0, s20
	s_mul_i32 s6, s0, 3
	s_add_i32 s29, s27, s25
	s_ashr_i32 s7, s6, 31
	s_bitcmp1_b32 s23, 0
	v_lshrrev_b32_e32 v1, 27, v1
	s_cselect_b64 s[0:1], -1, 0
	v_add_u32_e32 v0, v0, v1
	s_xor_b64 s[0:1], s[0:1], -1
	v_ashrrev_i32_e32 v14, 5, v0
	v_not_b32_e32 v0, 63
	s_ashr_i32 s21, s20, 31
	s_lshl_b64 s[6:7], s[6:7], 2
	v_ashrrev_i32_e32 v13, 31, v12
	v_mad_u32_u24 v26, v2, 3, v0
	v_not_b32_e32 v0, 31
	s_add_u32 s6, s12, s6
	v_mad_u32_u24 v27, v2, 3, v0
	v_lshlrev_b64 v[0:1], 2, v[12:13]
	s_addc_u32 s7, s13, s7
	v_cndmask_b32_e64 v25, 0, 1, s[0:1]
	v_cmp_ne_u32_e64 s[0:1], 8, v2
	v_cmp_lt_u32_e64 s[2:3], 16, v2
	v_cmp_ne_u32_e64 s[4:5], 20, v2
	v_mov_b32_e32 v2, s7
	v_add_co_u32_e64 v16, s[6:7], s6, v0
	v_and_b32_e32 v28, 7, v3
	v_bfe_u32 v29, v3, 3, 3
	v_bfe_u32 v30, v3, 6, 3
	;; [unrolled: 1-line block ×3, first 2 shown]
	v_addc_co_u32_e64 v17, s[6:7], v2, v1, s[6:7]
	s_mul_hi_i32 s30, s20, 12
	s_mul_i32 s31, s20, 12
	s_lshl_b64 s[8:9], s[20:21], 2
	s_mov_b32 s21, 0
	v_mov_b32_e32 v13, 0
	s_mov_b32 s33, 0x2010007
	s_mov_b32 s34, 0x64006400
	;; [unrolled: 1-line block ×3, first 2 shown]
	s_movk_i32 s36, 0x3000
	s_movk_i32 s37, 0x2400
	s_mov_b32 s38, 0x7060302
	v_mov_b32_e32 v15, 0
	v_mov_b32_e32 v21, 0
	;; [unrolled: 1-line block ×5, first 2 shown]
	s_branch .LBB24_29
.LBB24_27:                              ;   in Loop: Header=BB24_29 Depth=1
	s_or_b64 exec, exec, s[6:7]
	v_add_u32_e32 v0, s39, v12
	v_ashrrev_i32_e32 v1, 31, v0
	v_lshlrev_b64 v[0:1], 1, v[0:1]
	s_waitcnt vmcnt(0)
	v_mov_b32_e32 v3, s17
	v_add_co_u32_e64 v0, s[6:7], s16, v0
	v_addc_co_u32_e64 v1, s[6:7], v3, v1, s[6:7]
	global_load_dwordx2 v[18:19], v[0:1], off
	s_add_i32 s29, s29, s27
	v_and_b32_e32 v28, 7, v2
	v_bfe_u32 v29, v2, 3, 3
	v_bfe_u32 v30, v2, 6, 3
	;; [unrolled: 1-line block ×3, first 2 shown]
.LBB24_28:                              ;   in Loop: Header=BB24_29 Depth=1
	v_mov_b32_e32 v2, s9
	v_add_co_u32_e64 v0, s[6:7], s8, v16
	v_addc_co_u32_e64 v1, s[6:7], v17, v2, s[6:7]
	global_load_dwordx4 v[8:11], v[16:17], off
	global_load_dwordx4 v[4:7], v[0:1], off
	v_add_co_u32_e64 v0, s[6:7], s8, v0
	v_addc_co_u32_e64 v1, s[6:7], v1, v2, s[6:7]
	global_load_dwordx4 v[0:3], v[0:1], off
	v_add_u32_e32 v34, v30, v25
	v_or_b32_e32 v36, 0xffffe400, v34
	v_cvt_f32_i32_e32 v34, v34
	v_add_u32_e32 v32, v28, v25
	v_add_u32_e32 v33, v29, v25
	v_or_b32_e32 v40, 0xffffe400, v32
	v_cvt_f16_f32_e32 v41, v34
	v_cvt_f32_i32_e32 v32, v32
	v_add_u32_e32 v35, v31, v25
	v_cvt_f32_i32_e32 v38, v33
	v_or_b32_e32 v39, 0xffffe400, v33
	v_or_b32_e32 v33, 0xffffe400, v35
	v_cvt_f32_i32_e32 v35, v35
	v_sub_f16_e32 v83, 0xd800, v41
	v_cvt_f16_f32_e32 v37, v32
	v_cvt_f16_f32_e32 v38, v38
	v_cvt_f16_f32_e32 v42, v35
	v_sub_f16_e32 v98, 0xcc00, v41
	v_sub_f16_e32 v67, 0xd800, v37
	;; [unrolled: 1-line block ×7, first 2 shown]
	s_add_i32 s25, s25, 32
	v_add_co_u32_e64 v16, s[6:7], s31, v16
	s_waitcnt vmcnt(2)
	v_and_b32_e32 v43, 0x70007, v10
	v_and_b32_e32 v44, 0x380038, v10
	v_lshrrev_b32_e32 v59, 6, v10
	v_lshrrev_b32_e32 v48, 15, v10
	v_and_b32_e32 v10, 0x70007, v11
	s_waitcnt vmcnt(1)
	v_and_b32_e32 v78, 0x70007, v5
	s_waitcnt vmcnt(0)
	v_and_b32_e32 v84, 0x70007, v0
	v_and_b32_e32 v85, 0x380038, v0
	v_lshrrev_b32_e32 v74, 6, v0
	v_lshrrev_b32_e32 v75, 13, v0
	v_or_b32_e32 v0, 0x64006400, v43
	v_and_b32_e32 v86, 0x70007, v1
	v_and_b32_e32 v87, 0x380038, v1
	v_lshrrev_b32_e32 v70, 6, v1
	v_lshrrev_b32_e32 v73, 13, v1
	v_and_b32_e32 v88, 0x70007, v2
	v_and_b32_e32 v89, 0x380038, v2
	v_lshrrev_b32_e32 v68, 6, v2
	v_lshrrev_b32_e32 v69, 13, v2
	v_or_b32_e32 v1, 0x64006400, v44
	v_pk_add_f16 v2, v36, v0 op_sel_hi:[0,1]
	v_or_b32_e32 v0, 0x64006400, v10
	v_mov_b32_e32 v10, s21
	v_and_b32_e32 v53, 0x380038, v5
	v_lshrrev_b32_e32 v71, 6, v5
	v_lshrrev_b32_e32 v57, 14, v5
	v_and_b32_e32 v90, 0x70007, v3
	v_and_b32_e32 v91, 0x380038, v3
	v_lshrrev_b32_e32 v64, 6, v3
	v_lshrrev_b32_e32 v66, 13, v3
	v_pk_fma_f16 v3, v1, s36, v83 op_sel_hi:[1,0,0]
	v_pk_add_f16 v5, v33, v0 op_sel_hi:[0,1]
	ds_read2_b32 v[0:1], v10 offset1:1
	v_and_b32_e32 v32, 0x70007, v8
	v_and_b32_e32 v34, 0x380038, v8
	v_lshrrev_b32_e32 v47, 6, v8
	v_lshrrev_b32_e32 v52, 15, v8
	v_and_b32_e32 v8, 0x70007, v9
	v_and_b32_e32 v35, 0x380038, v9
	v_lshrrev_b32_e32 v46, 6, v9
	v_lshrrev_b32_e32 v51, 15, v9
	v_or_b32_e32 v9, 0x64006400, v32
	v_and_b32_e32 v62, 0x380038, v11
	v_lshrrev_b32_e32 v58, 6, v11
	v_lshrrev_b32_e32 v45, 15, v11
	v_or_b32_e32 v11, 0x64006400, v34
	v_or_b32_e32 v32, 0x64006400, v8
	v_pk_add_f16 v8, v40, v9 op_sel_hi:[0,1]
	v_or_b32_e32 v34, 0x64006400, v35
	v_and_b32_e32 v61, 0x70007, v4
	v_and_b32_e32 v54, 0x380038, v4
	v_lshrrev_b32_e32 v72, 6, v4
	v_lshrrev_b32_e32 v60, 14, v4
	v_pk_fma_f16 v9, v11, s36, v67 op_sel_hi:[1,0,0]
	v_pk_add_f16 v4, v39, v32 op_sel_hi:[0,1]
	s_waitcnt lgkmcnt(0)
	v_pk_fma_f16 v11, v8, v0, 0
	v_and_b32_e32 v77, 0x70007, v6
	v_and_b32_e32 v50, 0x380038, v6
	v_lshrrev_b32_e32 v65, 6, v6
	v_lshrrev_b32_e32 v56, 14, v6
	v_and_b32_e32 v76, 0x70007, v7
	v_and_b32_e32 v49, 0x380038, v7
	v_lshrrev_b32_e32 v63, 6, v7
	v_lshrrev_b32_e32 v55, 14, v7
	v_pk_fma_f16 v7, v34, s36, v82 op_sel_hi:[1,0,0]
	v_or_b32_e32 v6, 0x64006400, v62
	v_pk_fma_f16 v62, v9, v1, v11
	v_pk_fma_f16 v11, v4, v0, 0
	v_pk_fma_f16 v6, v6, s36, v92 op_sel_hi:[1,0,0]
	v_pk_fma_f16 v79, v7, v1, v11
	v_pk_fma_f16 v11, v2, v0, 0
	;; [unrolled: 1-line block ×4, first 2 shown]
	v_and_b32_e32 v0, 0x70007, v47
	v_pk_fma_f16 v93, v3, v1, v11
	v_or_b32_e32 v0, 0x64006400, v0
	v_and_b32_e32 v1, 0x380038, v47
	v_or_b32_e32 v1, 0x64006400, v1
	v_pk_add_f16 v43, v40, v0 op_sel_hi:[0,1]
	v_and_b32_e32 v0, 0x70007, v46
	ds_read2_b32 v[80:81], v10 offset0:2 offset1:3
	ds_read2_b32 v[94:95], v10 offset0:4 offset1:5
	;; [unrolled: 1-line block ×3, first 2 shown]
	v_pk_fma_f16 v44, v1, s36, v67 op_sel_hi:[1,0,0]
	v_or_b32_e32 v0, 0x64006400, v0
	v_and_b32_e32 v1, 0x380038, v46
	v_or_b32_e32 v1, 0x64006400, v1
	v_pk_add_f16 v34, v39, v0 op_sel_hi:[0,1]
	v_and_b32_e32 v0, 0x70007, v59
	v_and_b32_e32 v37, 0x1c001c0, v47
	v_pk_fma_f16 v35, v1, s36, v82 op_sel_hi:[1,0,0]
	v_or_b32_e32 v0, 0x64006400, v0
	v_and_b32_e32 v1, 0x380038, v59
	v_or_b32_e32 v37, 0x64006400, v37
	v_or_b32_e32 v1, 0x64006400, v1
	v_pk_add_f16 v11, v36, v0 op_sel_hi:[0,1]
	v_and_b32_e32 v0, 0x70007, v58
	s_waitcnt lgkmcnt(2)
	v_pk_fma_f16 v62, v43, v80, v62
	v_or_b32_e32 v38, 0x64006400, v61
	v_pk_fma_f16 v61, v37, s37, v100 op_sel_hi:[1,0,0]
	v_and_b32_e32 v37, 0x1c001c0, v46
	v_pk_fma_f16 v32, v1, s36, v83 op_sel_hi:[1,0,0]
	v_or_b32_e32 v0, 0x64006400, v0
	v_and_b32_e32 v1, 0x380038, v58
	v_pk_fma_f16 v101, v44, v81, v62
	v_pk_fma_f16 v62, v34, v80, v79
	v_or_b32_e32 v37, 0x64006400, v37
	v_or_b32_e32 v1, 0x64006400, v1
	v_pk_add_f16 v0, v33, v0 op_sel_hi:[0,1]
	v_pk_fma_f16 v79, v35, v81, v62
	v_pk_fma_f16 v62, v11, v80, v93
	v_pk_fma_f16 v46, v37, s37, v99 op_sel_hi:[1,0,0]
	v_and_b32_e32 v37, 0x1c001c0, v59
	v_pk_fma_f16 v1, v1, s36, v92 op_sel_hi:[1,0,0]
	v_pk_fma_f16 v93, v32, v81, v62
	v_pk_fma_f16 v62, v0, v80, v96
	v_or_b32_e32 v37, 0x64006400, v37
	v_pk_fma_f16 v80, v1, v81, v62
	v_pk_add_f16 v62, v40, v38 op_sel_hi:[0,1]
	v_or_b32_e32 v38, 0x64006400, v78
	v_pk_fma_f16 v41, v37, s37, v98 op_sel_hi:[1,0,0]
	v_and_b32_e32 v37, 0x1c001c0, v58
	s_waitcnt lgkmcnt(1)
	v_pk_fma_f16 v58, v61, v94, v101
	v_pk_add_f16 v47, v39, v38 op_sel_hi:[0,1]
	v_or_b32_e32 v38, 0x64006400, v77
	v_or_b32_e32 v37, 0x64006400, v37
	v_pk_fma_f16 v78, v62, v95, v58
	v_pk_fma_f16 v58, v46, v94, v79
	v_pk_add_f16 v42, v36, v38 op_sel_hi:[0,1]
	v_or_b32_e32 v38, 0x64006400, v76
	v_pk_fma_f16 v37, v37, s37, v97 op_sel_hi:[1,0,0]
	v_pk_fma_f16 v79, v47, v95, v58
	v_pk_fma_f16 v58, v41, v94, v93
	v_pk_add_f16 v38, v33, v38 op_sel_hi:[0,1]
	v_pk_fma_f16 v81, v42, v95, v58
	v_pk_fma_f16 v58, v37, v94, v80
	;; [unrolled: 1-line block ×3, first 2 shown]
	v_or_b32_e32 v54, 0x64006400, v54
	v_and_b32_e32 v58, 0x70007, v72
	v_or_b32_e32 v58, 0x64006400, v58
	v_pk_fma_f16 v77, v54, s36, v67 op_sel_hi:[1,0,0]
	v_or_b32_e32 v53, 0x64006400, v53
	v_and_b32_e32 v54, 0x70007, v71
	v_pk_add_f16 v76, v40, v58 op_sel_hi:[0,1]
	v_or_b32_e32 v54, 0x64006400, v54
	v_pk_fma_f16 v58, v53, s36, v82 op_sel_hi:[1,0,0]
	v_or_b32_e32 v50, 0x64006400, v50
	v_and_b32_e32 v53, 0x70007, v65
	s_waitcnt lgkmcnt(0)
	v_pk_fma_f16 v78, v77, v102, v78
	v_pk_add_f16 v59, v39, v54 op_sel_hi:[0,1]
	v_or_b32_e32 v54, 0x64006400, v53
	v_pk_fma_f16 v53, v50, s36, v83 op_sel_hi:[1,0,0]
	v_or_b32_e32 v49, 0x64006400, v49
	v_and_b32_e32 v50, 0x70007, v63
	v_pk_fma_f16 v93, v76, v103, v78
	v_pk_fma_f16 v78, v58, v102, v79
	v_pk_add_f16 v54, v36, v54 op_sel_hi:[0,1]
	v_or_b32_e32 v50, 0x64006400, v50
	v_pk_fma_f16 v49, v49, s36, v92 op_sel_hi:[1,0,0]
	v_pk_fma_f16 v96, v59, v103, v78
	v_pk_fma_f16 v78, v53, v102, v81
	v_pk_add_f16 v50, v33, v50 op_sel_hi:[0,1]
	v_pk_fma_f16 v101, v54, v103, v78
	v_pk_fma_f16 v78, v49, v102, v80
	;; [unrolled: 1-line block ×3, first 2 shown]
	v_and_b32_e32 v78, 0x380038, v72
	v_and_b32_e32 v72, 0x1c001c0, v72
	v_or_b32_e32 v72, 0x64006400, v72
	ds_read2_b32 v[94:95], v10 offset0:8 offset1:9
	v_pk_fma_f16 v81, v72, s37, v100 op_sel_hi:[1,0,0]
	v_and_b32_e32 v72, 0x380038, v71
	v_and_b32_e32 v71, 0x1c001c0, v71
	v_or_b32_e32 v71, 0x64006400, v71
	v_or_b32_e32 v78, 0x64006400, v78
	v_pk_fma_f16 v79, v71, s37, v99 op_sel_hi:[1,0,0]
	v_and_b32_e32 v71, 0x380038, v65
	v_and_b32_e32 v65, 0x1c001c0, v65
	v_pk_fma_f16 v80, v78, s36, v67 op_sel_hi:[1,0,0]
	v_or_b32_e32 v72, 0x64006400, v72
	v_or_b32_e32 v65, 0x64006400, v65
	v_pk_fma_f16 v78, v72, s36, v82 op_sel_hi:[1,0,0]
	v_or_b32_e32 v71, 0x64006400, v71
	v_pk_fma_f16 v72, v65, s37, v98 op_sel_hi:[1,0,0]
	v_and_b32_e32 v65, 0x380038, v63
	v_and_b32_e32 v63, 0x1c001c0, v63
	s_waitcnt lgkmcnt(0)
	v_pk_fma_f16 v93, v80, v94, v93
	v_pk_fma_f16 v71, v71, s36, v83 op_sel_hi:[1,0,0]
	v_or_b32_e32 v65, 0x64006400, v65
	v_or_b32_e32 v102, 0x64006400, v63
	v_pk_fma_f16 v109, v81, v95, v93
	v_pk_fma_f16 v93, v78, v94, v96
	v_pk_fma_f16 v63, v65, s36, v92 op_sel_hi:[1,0,0]
	v_pk_fma_f16 v65, v102, s37, v97 op_sel_hi:[1,0,0]
	ds_read2_b32 v[102:103], v10 offset0:10 offset1:11
	ds_read2_b32 v[104:105], v10 offset0:12 offset1:13
	;; [unrolled: 1-line block ×3, first 2 shown]
	v_pk_fma_f16 v110, v79, v95, v93
	v_pk_fma_f16 v93, v71, v94, v101
	;; [unrolled: 1-line block ×4, first 2 shown]
	v_or_b32_e32 v84, 0x64006400, v84
	v_pk_fma_f16 v108, v65, v95, v93
	v_or_b32_e32 v85, 0x64006400, v85
	v_pk_add_f16 v95, v40, v84 op_sel_hi:[0,1]
	v_or_b32_e32 v84, 0x64006400, v86
	v_pk_fma_f16 v96, v85, s36, v67 op_sel_hi:[1,0,0]
	v_or_b32_e32 v85, 0x64006400, v87
	v_pk_add_f16 v93, v39, v84 op_sel_hi:[0,1]
	v_or_b32_e32 v84, 0x64006400, v88
	s_waitcnt lgkmcnt(2)
	v_pk_fma_f16 v88, v95, v102, v109
	v_pk_fma_f16 v94, v85, s36, v82 op_sel_hi:[1,0,0]
	v_or_b32_e32 v85, 0x64006400, v89
	v_pk_add_f16 v86, v36, v84 op_sel_hi:[0,1]
	v_or_b32_e32 v84, 0x64006400, v90
	v_pk_fma_f16 v109, v96, v103, v88
	v_pk_fma_f16 v88, v93, v102, v110
	v_pk_fma_f16 v87, v85, s36, v83 op_sel_hi:[1,0,0]
	v_or_b32_e32 v85, 0x64006400, v91
	v_pk_add_f16 v84, v33, v84 op_sel_hi:[0,1]
	v_pk_fma_f16 v110, v94, v103, v88
	v_pk_fma_f16 v88, v86, v102, v101
	v_pk_fma_f16 v85, v85, s36, v92 op_sel_hi:[1,0,0]
	v_pk_fma_f16 v101, v87, v103, v88
	v_pk_fma_f16 v88, v84, v102, v108
	;; [unrolled: 1-line block ×3, first 2 shown]
	v_and_b32_e32 v88, 0x380038, v74
	v_or_b32_e32 v88, 0x64006400, v88
	v_pk_fma_f16 v90, v88, s36, v67 op_sel_hi:[1,0,0]
	v_and_b32_e32 v67, 0x380038, v70
	v_or_b32_e32 v67, 0x64006400, v67
	v_pk_fma_f16 v89, v67, s36, v82 op_sel_hi:[1,0,0]
	v_and_b32_e32 v67, 0x380038, v68
	v_or_b32_e32 v67, 0x64006400, v67
	v_and_b32_e32 v60, 0x20002, v60
	v_pk_fma_f16 v82, v67, s36, v83 op_sel_hi:[1,0,0]
	v_and_b32_e32 v67, 0x380038, v64
	v_and_b32_e32 v83, 0x70007, v74
	v_and_or_b32 v52, v52, s35, v60
	v_and_b32_e32 v60, 0x40004, v75
	v_or_b32_e32 v67, 0x64006400, v67
	v_or_b32_e32 v83, 0x64006400, v83
	v_or3_b32 v52, v52, v60, s34
	v_pk_fma_f16 v67, v67, s36, v92 op_sel_hi:[1,0,0]
	v_pk_add_f16 v92, v40, v83 op_sel_hi:[0,1]
	v_and_b32_e32 v60, 0x1c001c0, v74
	v_pk_add_f16 v74, v40, v52 op_sel_hi:[0,1]
	v_and_b32_e32 v40, 0x20002, v57
	v_and_b32_e32 v83, 0x70007, v70
	v_and_or_b32 v40, v51, s35, v40
	v_and_b32_e32 v51, 0x40004, v73
	v_or_b32_e32 v83, 0x64006400, v83
	v_or3_b32 v40, v40, v51, s34
	v_pk_add_f16 v91, v39, v83 op_sel_hi:[0,1]
	v_and_b32_e32 v83, 0x70007, v68
	v_pk_add_f16 v52, v39, v40 op_sel_hi:[0,1]
	v_and_b32_e32 v39, 0x20002, v56
	v_or_b32_e32 v83, 0x64006400, v83
	v_and_or_b32 v39, v48, s35, v39
	v_and_b32_e32 v40, 0x40004, v69
	ds_read2_b32 v[56:57], v10 offset0:64 offset1:65
	v_pk_add_f16 v88, v36, v83 op_sel_hi:[0,1]
	v_or3_b32 v40, v39, v40, s34
	v_and_b32_e32 v39, 0x1c001c0, v68
	s_waitcnt lgkmcnt(2)
	v_pk_fma_f16 v101, v88, v104, v101
	v_and_b32_e32 v51, 0x1c001c0, v70
	v_or_b32_e32 v39, 0x64006400, v39
	v_pk_fma_f16 v101, v82, v105, v101
	v_or_b32_e32 v60, 0x64006400, v60
	v_or_b32_e32 v51, 0x64006400, v51
	v_pk_fma_f16 v39, v39, s37, v98 op_sel_hi:[1,0,0]
	v_pk_fma_f16 v60, v60, s37, v100 op_sel_hi:[1,0,0]
	;; [unrolled: 1-line block ×3, first 2 shown]
	v_pk_add_f16 v40, v36, v40 op_sel_hi:[0,1]
	v_and_b32_e32 v36, 0x20002, v55
	s_waitcnt lgkmcnt(1)
	v_pk_fma_f16 v55, v39, v106, v101
	ds_read2_b32 v[68:69], v10 offset0:66 offset1:67
	ds_read2_b32 v[98:99], v10 offset0:68 offset1:69
	;; [unrolled: 1-line block ×3, first 2 shown]
	v_and_or_b32 v36, v45, s35, v36
	v_and_b32_e32 v45, 0x40004, v66
	s_waitcnt lgkmcnt(3)
	v_pk_fma_f16 v66, v8, v56, 0
	v_pk_fma_f16 v66, v9, v57, v66
	;; [unrolled: 1-line block ×8, first 2 shown]
	s_waitcnt lgkmcnt(2)
	v_pk_fma_f16 v57, v43, v68, v66
	v_pk_fma_f16 v57, v44, v69, v57
	;; [unrolled: 1-line block ×5, first 2 shown]
	s_waitcnt lgkmcnt(1)
	v_pk_fma_f16 v57, v61, v98, v57
	v_pk_fma_f16 v70, v32, v69, v70
	v_pk_fma_f16 v56, v0, v68, v56
	v_pk_fma_f16 v57, v62, v99, v57
	v_pk_fma_f16 v66, v46, v98, v66
	v_pk_fma_f16 v56, v1, v69, v56
	v_pk_fma_f16 v66, v47, v99, v66
	v_pk_fma_f16 v68, v41, v98, v70
	s_waitcnt lgkmcnt(0)
	v_pk_fma_f16 v57, v77, v100, v57
	v_pk_fma_f16 v68, v42, v99, v68
	;; [unrolled: 1-line block ×10, first 2 shown]
	ds_read2_b32 v[56:57], v10 offset0:72 offset1:73
	v_and_b32_e32 v83, 0x70007, v64
	v_pk_fma_f16 v75, v50, v101, v68
	ds_read2_b32 v[68:69], v10 offset0:74 offset1:75
	ds_read2_b32 v[98:99], v10 offset0:76 offset1:77
	;; [unrolled: 1-line block ×3, first 2 shown]
	v_or_b32_e32 v83, 0x64006400, v83
	v_pk_fma_f16 v103, v92, v104, v109
	v_pk_fma_f16 v108, v91, v104, v110
	s_waitcnt lgkmcnt(3)
	v_pk_fma_f16 v70, v80, v56, v70
	v_pk_fma_f16 v66, v78, v56, v66
	v_pk_add_f16 v83, v33, v83 op_sel_hi:[0,1]
	v_pk_fma_f16 v103, v90, v105, v103
	v_pk_fma_f16 v108, v89, v105, v108
	v_or3_b32 v45, v36, v45, s34
	v_and_b32_e32 v36, 0x1c001c0, v64
	v_pk_fma_f16 v70, v81, v57, v70
	v_pk_fma_f16 v66, v79, v57, v66
	;; [unrolled: 1-line block ×5, first 2 shown]
	v_or_b32_e32 v36, 0x64006400, v36
	v_pk_add_f16 v33, v33, v45 op_sel_hi:[0,1]
	v_pk_fma_f16 v45, v60, v106, v103
	v_pk_fma_f16 v48, v51, v106, v108
	;; [unrolled: 1-line block ×4, first 2 shown]
	s_waitcnt lgkmcnt(2)
	v_pk_fma_f16 v57, v95, v68, v70
	v_pk_fma_f16 v66, v93, v68, v66
	;; [unrolled: 1-line block ×3, first 2 shown]
	v_pk_fma_f16 v36, v36, s37, v97 op_sel_hi:[1,0,0]
	v_pk_fma_f16 v45, v74, v107, v45
	v_pk_fma_f16 v48, v52, v107, v48
	;; [unrolled: 1-line block ×9, first 2 shown]
	s_waitcnt lgkmcnt(1)
	v_pk_fma_f16 v57, v92, v98, v57
	v_pk_fma_f16 v66, v91, v98, v66
	v_pack_b32_f16 v69, v45, v48
	v_perm_b32 v45, v48, v45, s38
	v_pk_fma_f16 v55, v40, v107, v55
	v_pk_fma_f16 v64, v33, v107, v64
	;; [unrolled: 1-line block ×4, first 2 shown]
	v_pk_add_f16 v45, v69, v45
	v_pk_fma_f16 v68, v88, v98, v70
	v_pk_fma_f16 v56, v83, v98, v56
	s_waitcnt lgkmcnt(0)
	v_pk_fma_f16 v57, v60, v100, v57
	v_pk_fma_f16 v66, v51, v100, v66
	v_pk_fma_f16 v24, v45, v18, v24
	v_pack_b32_f16 v45, v55, v64
	v_perm_b32 v48, v64, v55, s38
	v_pk_fma_f16 v68, v82, v99, v68
	v_pk_fma_f16 v56, v67, v99, v56
	;; [unrolled: 1-line block ×4, first 2 shown]
	v_pk_add_f16 v45, v45, v48
	v_pk_fma_f16 v68, v39, v100, v68
	v_pk_fma_f16 v56, v36, v100, v56
	;; [unrolled: 1-line block ×3, first 2 shown]
	v_pack_b32_f16 v45, v57, v66
	v_perm_b32 v48, v66, v57, s38
	v_pk_fma_f16 v68, v40, v101, v68
	v_pk_fma_f16 v56, v33, v101, v56
	v_pk_add_f16 v45, v45, v48
	v_pk_fma_f16 v22, v45, v18, v22
	v_pack_b32_f16 v45, v68, v56
	v_perm_b32 v48, v56, v68, s38
	ds_read2_b32 v[56:57], v10 offset0:128 offset1:129
	ds_read2_b32 v[68:69], v10 offset0:130 offset1:131
	;; [unrolled: 1-line block ×4, first 2 shown]
	v_pk_add_f16 v45, v45, v48
	v_pk_fma_f16 v21, v45, v19, v21
	s_add_i32 s21, s21, 64
	s_waitcnt lgkmcnt(3)
	v_pk_fma_f16 v8, v8, v56, 0
	v_pk_fma_f16 v8, v9, v57, v8
	s_waitcnt lgkmcnt(2)
	v_pk_fma_f16 v8, v43, v68, v8
	v_pk_fma_f16 v2, v2, v56, 0
	;; [unrolled: 1-line block ×5, first 2 shown]
	s_waitcnt lgkmcnt(1)
	v_pk_fma_f16 v8, v61, v98, v8
	v_pk_fma_f16 v4, v4, v56, 0
	;; [unrolled: 1-line block ×7, first 2 shown]
	s_waitcnt lgkmcnt(0)
	v_pk_fma_f16 v43, v77, v100, v8
	ds_read2_b32 v[8:9], v10 offset0:136 offset1:137
	v_pk_fma_f16 v4, v34, v68, v4
	v_pk_fma_f16 v2, v32, v69, v2
	;; [unrolled: 1-line block ×13, first 2 shown]
	ds_read2_b32 v[44:45], v10 offset0:138 offset1:139
	ds_read2_b32 v[76:77], v10 offset0:140 offset1:141
	;; [unrolled: 1-line block ×3, first 2 shown]
	v_pk_fma_f16 v4, v58, v100, v4
	v_pk_fma_f16 v2, v54, v101, v2
	v_pk_fma_f16 v0, v50, v101, v0
	v_pk_fma_f16 v4, v59, v101, v4
	s_waitcnt lgkmcnt(3)
	v_pk_fma_f16 v2, v71, v8, v2
	v_pk_fma_f16 v0, v63, v8, v0
	v_pk_fma_f16 v10, v80, v8, v43
	v_pk_fma_f16 v4, v78, v8, v4
	v_pk_fma_f16 v2, v72, v9, v2
	v_pk_fma_f16 v0, v65, v9, v0
	v_pk_fma_f16 v10, v81, v9, v10
	v_pk_fma_f16 v4, v79, v9, v4
	s_waitcnt lgkmcnt(2)
	v_pk_fma_f16 v2, v86, v44, v2
	v_pk_fma_f16 v0, v84, v44, v0
	v_pk_fma_f16 v10, v95, v44, v10
	v_pk_fma_f16 v4, v93, v44, v4
	;; [unrolled: 9-line block ×4, first 2 shown]
	v_pk_fma_f16 v2, v40, v103, v2
	v_pk_fma_f16 v0, v33, v103, v0
	;; [unrolled: 1-line block ×4, first 2 shown]
	v_pack_b32_f16 v1, v2, v0
	v_perm_b32 v0, v0, v2, s38
	v_pack_b32_f16 v7, v10, v4
	v_perm_b32 v4, v4, v10, s38
	v_pk_add_f16 v0, v1, v0
	v_pk_add_f16 v4, v7, v4
	v_pk_fma_f16 v13, v0, v19, v13
	v_mov_b32_e32 v0, s30
	v_pk_fma_f16 v15, v4, v18, v15
	s_cmp_ge_i32 s25, s26
	v_addc_co_u32_e64 v17, s[6:7], v17, v0, s[6:7]
	s_cbranch_scc1 .LBB24_46
.LBB24_29:                              ; =>This Inner Loop Header: Depth=1
	s_cmp_lg_u32 s25, s29
	s_cbranch_scc1 .LBB24_28
; %bb.30:                               ;   in Loop: Header=BB24_29 Depth=1
	s_add_i32 s28, s28, 1
	s_mul_i32 s39, s28, s20
	s_ashr_i32 s6, s39, 31
	s_lshr_b32 s6, s6, 27
	s_add_i32 s6, s39, s6
	s_ashr_i32 s6, s6, 5
	v_mad_u64_u32 v[0:1], s[6:7], s6, 3, v[14:15]
	v_ashrrev_i32_e32 v1, 31, v0
	v_lshlrev_b64 v[0:1], 2, v[0:1]
	v_mov_b32_e32 v2, s15
	v_add_co_u32_e64 v0, s[6:7], s14, v0
	v_addc_co_u32_e64 v1, s[6:7], v2, v1, s[6:7]
	global_load_dword v3, v[0:1], off
                                        ; implicit-def: $vgpr2
	s_and_saveexec_b64 s[6:7], vcc
	s_xor_b64 s[6:7], exec, s[6:7]
	s_cbranch_execz .LBB24_44
; %bb.31:                               ;   in Loop: Header=BB24_29 Depth=1
                                        ; implicit-def: $vgpr2
	s_and_saveexec_b64 s[10:11], s[0:1]
	s_xor_b64 s[10:11], exec, s[10:11]
	s_cbranch_execz .LBB24_41
; %bb.32:                               ;   in Loop: Header=BB24_29 Depth=1
                                        ; implicit-def: $vgpr2
	s_and_saveexec_b64 s[12:13], s[2:3]
	;; [unrolled: 5-line block ×3, first 2 shown]
	s_xor_b64 s[22:23], exec, s[22:23]
	s_cbranch_execz .LBB24_35
; %bb.34:                               ;   in Loop: Header=BB24_29 Depth=1
	s_waitcnt vmcnt(0)
	v_lshrrev_b32_e32 v2, v26, v3
                                        ; implicit-def: $vgpr0_vgpr1
                                        ; implicit-def: $vgpr3
.LBB24_35:                              ;   in Loop: Header=BB24_29 Depth=1
	s_andn2_saveexec_b64 s[22:23], s[22:23]
	s_cbranch_execz .LBB24_37
; %bb.36:                               ;   in Loop: Header=BB24_29 Depth=1
	global_load_dword v0, v[0:1], off offset:4
	s_waitcnt vmcnt(0)
	v_alignbit_b32 v0, v0, v3, 28
	v_and_b32_e32 v2, 0xfff, v0
.LBB24_37:                              ;   in Loop: Header=BB24_29 Depth=1
	s_or_b64 exec, exec, s[22:23]
                                        ; implicit-def: $vgpr3
.LBB24_38:                              ;   in Loop: Header=BB24_29 Depth=1
	s_andn2_saveexec_b64 s[12:13], s[12:13]
	s_cbranch_execz .LBB24_40
; %bb.39:                               ;   in Loop: Header=BB24_29 Depth=1
	s_waitcnt vmcnt(0)
	v_lshrrev_b32_e32 v2, v27, v3
.LBB24_40:                              ;   in Loop: Header=BB24_29 Depth=1
	s_or_b64 exec, exec, s[12:13]
                                        ; implicit-def: $vgpr0_vgpr1
                                        ; implicit-def: $vgpr3
.LBB24_41:                              ;   in Loop: Header=BB24_29 Depth=1
	s_andn2_saveexec_b64 s[10:11], s[10:11]
	s_cbranch_execz .LBB24_43
; %bb.42:                               ;   in Loop: Header=BB24_29 Depth=1
	global_load_dword v0, v[0:1], off offset:4
	s_waitcnt vmcnt(0)
	v_perm_b32 v0, v3, v0, s33
	v_and_b32_e32 v2, 0xfff, v0
.LBB24_43:                              ;   in Loop: Header=BB24_29 Depth=1
	s_or_b64 exec, exec, s[10:11]
                                        ; implicit-def: $vgpr3
.LBB24_44:                              ;   in Loop: Header=BB24_29 Depth=1
	s_andn2_saveexec_b64 s[6:7], s[6:7]
	s_cbranch_execz .LBB24_27
; %bb.45:                               ;   in Loop: Header=BB24_29 Depth=1
	s_waitcnt vmcnt(0)
	v_lshrrev_b32_e32 v2, v20, v3
	s_branch .LBB24_27
.LBB24_46:
	s_mul_i32 s24, s24, s20
	v_add_u32_e32 v0, s24, v12
	v_ashrrev_i32_e32 v1, 31, v0
	v_lshlrev_b64 v[2:3], 1, v[0:1]
	v_mov_b32_e32 v1, s19
	v_add_co_u32_e32 v2, vcc, s18, v2
	v_addc_co_u32_e32 v3, vcc, v1, v3, vcc
	global_load_dword v5, v[2:3], off
	s_mov_b64 s[0:1], 0
.LBB24_47:                              ; =>This Inner Loop Header: Depth=1
	s_waitcnt vmcnt(0)
	v_pk_add_f16 v4, v24, v5
	global_atomic_cmpswap v1, v[2:3], v[4:5], off glc
	s_waitcnt vmcnt(0)
	v_cmp_eq_u32_e32 vcc, v5, v1
	s_or_b64 s[0:1], vcc, s[0:1]
	v_mov_b32_e32 v5, v1
	s_andn2_b64 exec, exec, s[0:1]
	s_cbranch_execnz .LBB24_47
; %bb.48:
	s_or_b64 exec, exec, s[0:1]
	global_load_dword v5, v[2:3], off offset:4
	s_mov_b64 s[0:1], 0
.LBB24_49:                              ; =>This Inner Loop Header: Depth=1
	s_waitcnt vmcnt(0)
	v_pk_add_f16 v4, v23, v5
	global_atomic_cmpswap v1, v[2:3], v[4:5], off offset:4 glc
	s_waitcnt vmcnt(0)
	v_cmp_eq_u32_e32 vcc, v5, v1
	s_or_b64 s[0:1], vcc, s[0:1]
	v_mov_b32_e32 v5, v1
	s_andn2_b64 exec, exec, s[0:1]
	s_cbranch_execnz .LBB24_49
; %bb.50:
	s_or_b64 exec, exec, s[0:1]
	v_add_u32_e32 v0, s20, v0
	v_ashrrev_i32_e32 v1, 31, v0
	v_lshlrev_b64 v[2:3], 1, v[0:1]
	v_mov_b32_e32 v1, s19
	v_add_co_u32_e32 v2, vcc, s18, v2
	v_addc_co_u32_e32 v3, vcc, v1, v3, vcc
	global_load_dword v5, v[2:3], off
	s_mov_b64 s[0:1], 0
.LBB24_51:                              ; =>This Inner Loop Header: Depth=1
	s_waitcnt vmcnt(0)
	v_pk_add_f16 v4, v22, v5
	global_atomic_cmpswap v1, v[2:3], v[4:5], off glc
	s_waitcnt vmcnt(0)
	v_cmp_eq_u32_e32 vcc, v5, v1
	s_or_b64 s[0:1], vcc, s[0:1]
	v_mov_b32_e32 v5, v1
	s_andn2_b64 exec, exec, s[0:1]
	s_cbranch_execnz .LBB24_51
; %bb.52:
	s_or_b64 exec, exec, s[0:1]
	global_load_dword v5, v[2:3], off offset:4
	s_mov_b64 s[0:1], 0
.LBB24_53:                              ; =>This Inner Loop Header: Depth=1
	s_waitcnt vmcnt(0)
	v_pk_add_f16 v4, v21, v5
	global_atomic_cmpswap v1, v[2:3], v[4:5], off offset:4 glc
	s_waitcnt vmcnt(0)
	v_cmp_eq_u32_e32 vcc, v5, v1
	s_or_b64 s[0:1], vcc, s[0:1]
	v_mov_b32_e32 v5, v1
	s_andn2_b64 exec, exec, s[0:1]
	s_cbranch_execnz .LBB24_53
; %bb.54:
	s_or_b64 exec, exec, s[0:1]
	v_add_u32_e32 v0, s20, v0
	v_ashrrev_i32_e32 v1, 31, v0
	v_lshlrev_b64 v[0:1], 1, v[0:1]
	v_mov_b32_e32 v2, s19
	v_add_co_u32_e32 v0, vcc, s18, v0
	v_addc_co_u32_e32 v1, vcc, v2, v1, vcc
	global_load_dword v3, v[0:1], off
	s_mov_b64 s[0:1], 0
.LBB24_55:                              ; =>This Inner Loop Header: Depth=1
	s_waitcnt vmcnt(0)
	v_pk_add_f16 v2, v15, v3
	global_atomic_cmpswap v2, v[0:1], v[2:3], off glc
	s_waitcnt vmcnt(0)
	v_cmp_eq_u32_e32 vcc, v3, v2
	s_or_b64 s[0:1], vcc, s[0:1]
	v_mov_b32_e32 v3, v2
	s_andn2_b64 exec, exec, s[0:1]
	s_cbranch_execnz .LBB24_55
; %bb.56:
	s_or_b64 exec, exec, s[0:1]
	global_load_dword v3, v[0:1], off offset:4
	s_mov_b64 s[0:1], 0
.LBB24_57:                              ; =>This Inner Loop Header: Depth=1
	s_waitcnt vmcnt(0)
	v_pk_add_f16 v2, v13, v3
	global_atomic_cmpswap v2, v[0:1], v[2:3], off offset:4 glc
	s_waitcnt vmcnt(0)
	v_cmp_eq_u32_e32 vcc, v3, v2
	s_or_b64 s[0:1], vcc, s[0:1]
	v_mov_b32_e32 v3, v2
	s_andn2_b64 exec, exec, s[0:1]
	s_cbranch_execnz .LBB24_57
.LBB24_58:
	s_endpgm
	.section	.rodata,"a",@progbits
	.p2align	6, 0x0
	.amdhsa_kernel _ZN4vllm4gptq33gemm_half_q_half_gptq_3bit_kernelILb1ELi3EEEvPK6__halfPKjS6_S4_PS2_iiiibPKi
		.amdhsa_group_segment_fixed_size 768
		.amdhsa_private_segment_fixed_size 0
		.amdhsa_kernarg_size 72
		.amdhsa_user_sgpr_count 6
		.amdhsa_user_sgpr_private_segment_buffer 1
		.amdhsa_user_sgpr_dispatch_ptr 0
		.amdhsa_user_sgpr_queue_ptr 0
		.amdhsa_user_sgpr_kernarg_segment_ptr 1
		.amdhsa_user_sgpr_dispatch_id 0
		.amdhsa_user_sgpr_flat_scratch_init 0
		.amdhsa_user_sgpr_kernarg_preload_length 0
		.amdhsa_user_sgpr_kernarg_preload_offset 0
		.amdhsa_user_sgpr_private_segment_size 0
		.amdhsa_uses_dynamic_stack 0
		.amdhsa_system_sgpr_private_segment_wavefront_offset 0
		.amdhsa_system_sgpr_workgroup_id_x 1
		.amdhsa_system_sgpr_workgroup_id_y 1
		.amdhsa_system_sgpr_workgroup_id_z 1
		.amdhsa_system_sgpr_workgroup_info 0
		.amdhsa_system_vgpr_workitem_id 0
		.amdhsa_next_free_vgpr 111
		.amdhsa_next_free_sgpr 40
		.amdhsa_accum_offset 112
		.amdhsa_reserve_vcc 1
		.amdhsa_reserve_flat_scratch 0
		.amdhsa_float_round_mode_32 0
		.amdhsa_float_round_mode_16_64 0
		.amdhsa_float_denorm_mode_32 3
		.amdhsa_float_denorm_mode_16_64 3
		.amdhsa_dx10_clamp 1
		.amdhsa_ieee_mode 1
		.amdhsa_fp16_overflow 0
		.amdhsa_tg_split 0
		.amdhsa_exception_fp_ieee_invalid_op 0
		.amdhsa_exception_fp_denorm_src 0
		.amdhsa_exception_fp_ieee_div_zero 0
		.amdhsa_exception_fp_ieee_overflow 0
		.amdhsa_exception_fp_ieee_underflow 0
		.amdhsa_exception_fp_ieee_inexact 0
		.amdhsa_exception_int_div_zero 0
	.end_amdhsa_kernel
	.section	.text._ZN4vllm4gptq33gemm_half_q_half_gptq_3bit_kernelILb1ELi3EEEvPK6__halfPKjS6_S4_PS2_iiiibPKi,"axG",@progbits,_ZN4vllm4gptq33gemm_half_q_half_gptq_3bit_kernelILb1ELi3EEEvPK6__halfPKjS6_S4_PS2_iiiibPKi,comdat
.Lfunc_end24:
	.size	_ZN4vllm4gptq33gemm_half_q_half_gptq_3bit_kernelILb1ELi3EEEvPK6__halfPKjS6_S4_PS2_iiiibPKi, .Lfunc_end24-_ZN4vllm4gptq33gemm_half_q_half_gptq_3bit_kernelILb1ELi3EEEvPK6__halfPKjS6_S4_PS2_iiiibPKi
                                        ; -- End function
	.section	.AMDGPU.csdata,"",@progbits
; Kernel info:
; codeLenInByte = 6376
; NumSgprs: 44
; NumVgprs: 111
; NumAgprs: 0
; TotalNumVgprs: 111
; ScratchSize: 0
; MemoryBound: 0
; FloatMode: 240
; IeeeMode: 1
; LDSByteSize: 768 bytes/workgroup (compile time only)
; SGPRBlocks: 5
; VGPRBlocks: 13
; NumSGPRsForWavesPerEU: 44
; NumVGPRsForWavesPerEU: 111
; AccumOffset: 112
; Occupancy: 4
; WaveLimiterHint : 0
; COMPUTE_PGM_RSRC2:SCRATCH_EN: 0
; COMPUTE_PGM_RSRC2:USER_SGPR: 6
; COMPUTE_PGM_RSRC2:TRAP_HANDLER: 0
; COMPUTE_PGM_RSRC2:TGID_X_EN: 1
; COMPUTE_PGM_RSRC2:TGID_Y_EN: 1
; COMPUTE_PGM_RSRC2:TGID_Z_EN: 1
; COMPUTE_PGM_RSRC2:TIDIG_COMP_CNT: 0
; COMPUTE_PGM_RSRC3_GFX90A:ACCUM_OFFSET: 27
; COMPUTE_PGM_RSRC3_GFX90A:TG_SPLIT: 0
	.section	.text._ZN4vllm4gptq33gemm_half_q_half_gptq_4bit_kernelILb1ELi3EEEvPK6__halfPKjS6_S4_PS2_iiiibPKi,"axG",@progbits,_ZN4vllm4gptq33gemm_half_q_half_gptq_4bit_kernelILb1ELi3EEEvPK6__halfPKjS6_S4_PS2_iiiibPKi,comdat
	.protected	_ZN4vllm4gptq33gemm_half_q_half_gptq_4bit_kernelILb1ELi3EEEvPK6__halfPKjS6_S4_PS2_iiiibPKi ; -- Begin function _ZN4vllm4gptq33gemm_half_q_half_gptq_4bit_kernelILb1ELi3EEEvPK6__halfPKjS6_S4_PS2_iiiibPKi
	.globl	_ZN4vllm4gptq33gemm_half_q_half_gptq_4bit_kernelILb1ELi3EEEvPK6__halfPKjS6_S4_PS2_iiiibPKi
	.p2align	8
	.type	_ZN4vllm4gptq33gemm_half_q_half_gptq_4bit_kernelILb1ELi3EEEvPK6__halfPKjS6_S4_PS2_iiiibPKi,@function
_ZN4vllm4gptq33gemm_half_q_half_gptq_4bit_kernelILb1ELi3EEEvPK6__halfPKjS6_S4_PS2_iiiibPKi: ; @_ZN4vllm4gptq33gemm_half_q_half_gptq_4bit_kernelILb1ELi3EEEvPK6__halfPKjS6_S4_PS2_iiiibPKi
; %bb.0:
	s_load_dwordx8 s[12:19], s[4:5], 0x8
	s_load_dwordx4 s[20:23], s[4:5], 0x2c
	s_lshl_b32 s24, s8, 7
	s_add_i32 s0, s24, 0x80
	v_cvt_f64_u32_e32 v[2:3], s0
	s_mul_i32 s7, s7, 3
	s_waitcnt lgkmcnt(0)
	v_cvt_f64_i32_e32 v[4:5], s21
	v_min_f64 v[2:3], v[2:3], v[4:5]
	v_cvt_i32_f64_e32 v1, v[2:3]
	v_add_u32_e32 v2, s24, v0
	v_readfirstlane_b32 s25, v1
	v_cmp_lt_u32_e32 vcc, v2, v1
	s_and_saveexec_b64 s[2:3], vcc
	s_cbranch_execz .LBB25_8
; %bb.1:
	s_load_dwordx2 s[0:1], s[4:5], 0x40
	s_load_dwordx2 s[8:9], s[4:5], 0x0
	v_mov_b32_e32 v3, 0
	v_lshlrev_b64 v[4:5], 2, v[2:3]
	v_pk_mov_b32 v[6:7], v[2:3], v[2:3] op_sel:[0,1]
	s_waitcnt lgkmcnt(0)
	s_cmp_lg_u64 s[0:1], 0
	v_mov_b32_e32 v1, s1
	v_add_co_u32_e32 v4, vcc, s0, v4
	s_cselect_b64 s[4:5], -1, 0
	s_cmp_eq_u64 s[0:1], 0
	v_addc_co_u32_e32 v5, vcc, v1, v5, vcc
	s_cbranch_scc1 .LBB25_3
; %bb.2:
	global_load_dword v6, v[4:5], off
	s_waitcnt vmcnt(0)
	v_ashrrev_i32_e32 v7, 31, v6
.LBB25_3:
	s_mul_i32 s10, s7, s21
	s_ashr_i32 s11, s10, 31
	s_lshl_b64 s[0:1], s[10:11], 1
	s_add_u32 s0, s8, s0
	s_addc_u32 s1, s9, s1
	v_lshlrev_b64 v[6:7], 1, v[6:7]
	v_mov_b32_e32 v1, s1
	v_add_co_u32_e32 v6, vcc, s0, v6
	v_addc_co_u32_e32 v7, vcc, v1, v7, vcc
	global_load_ushort v6, v[6:7], off
	v_lshlrev_b32_e32 v1, 1, v0
	v_cndmask_b32_e64 v7, 0, 1, s[4:5]
	v_cmp_ne_u32_e64 s[0:1], 1, v7
	s_andn2_b64 vcc, exec, s[4:5]
	s_waitcnt vmcnt(0)
	ds_write_b16 v1, v6
	v_pk_mov_b32 v[6:7], v[2:3], v[2:3] op_sel:[0,1]
	s_cbranch_vccnz .LBB25_5
; %bb.4:
	global_load_dword v6, v[4:5], off
	s_waitcnt vmcnt(0)
	v_ashrrev_i32_e32 v7, 31, v6
.LBB25_5:
	s_add_i32 s4, s10, s21
	s_ashr_i32 s5, s4, 31
	s_lshl_b64 s[10:11], s[4:5], 1
	s_add_u32 s5, s8, s10
	s_addc_u32 s10, s9, s11
	v_lshlrev_b64 v[6:7], 1, v[6:7]
	v_mov_b32_e32 v8, s10
	v_add_co_u32_e32 v6, vcc, s5, v6
	v_addc_co_u32_e32 v7, vcc, v8, v7, vcc
	global_load_ushort v6, v[6:7], off
	s_and_b64 vcc, exec, s[0:1]
	s_waitcnt vmcnt(0)
	ds_write_b16 v1, v6 offset:256
	s_cbranch_vccnz .LBB25_7
; %bb.6:
	global_load_dword v2, v[4:5], off
	s_waitcnt vmcnt(0)
	v_ashrrev_i32_e32 v3, 31, v2
.LBB25_7:
	s_add_i32 s0, s4, s21
	s_ashr_i32 s1, s0, 31
	s_lshl_b64 s[0:1], s[0:1], 1
	s_add_u32 s0, s8, s0
	s_addc_u32 s1, s9, s1
	v_lshlrev_b64 v[2:3], 1, v[2:3]
	v_mov_b32_e32 v4, s1
	v_add_co_u32_e32 v2, vcc, s0, v2
	v_addc_co_u32_e32 v3, vcc, v4, v3, vcc
	global_load_ushort v2, v[2:3], off
	s_waitcnt vmcnt(0)
	ds_write_b16 v1, v2 offset:512
.LBB25_8:
	s_or_b64 exec, exec, s[2:3]
	v_lshlrev_b32_e32 v1, 2, v0
	v_lshl_add_u32 v8, s6, 9, v1
	v_cmp_gt_i32_e32 vcc, s20, v8
	s_and_saveexec_b64 s[0:1], vcc
	s_cbranch_execz .LBB25_27
; %bb.9:
	s_abs_i32 s0, s22
	v_cvt_f32_u32_e32 v1, s0
	s_mov_b32 s4, 0
	v_mov_b32_e32 v13, 0
	v_mov_b32_e32 v12, 0
	v_rcp_iflag_f32_e32 v1, v1
	v_mov_b32_e32 v10, 0
	v_mov_b32_e32 v9, 0
	s_cmp_ge_i32 s24, s25
	v_mul_f32_e32 v1, 0x4f7ffffe, v1
	v_cvt_u32_f32_e32 v1, v1
	v_mov_b32_e32 v7, 0
	v_mov_b32_e32 v6, 0
	s_waitcnt lgkmcnt(0)
	v_readfirstlane_b32 s1, v1
	s_barrier
	s_cbranch_scc1 .LBB25_15
; %bb.10:
	s_sub_i32 s6, 0, s0
	s_mul_i32 s6, s6, s1
	s_mul_hi_u32 s6, s1, s6
	s_abs_i32 s5, s21
	s_add_i32 s1, s1, s6
	s_ashr_i32 s2, s21, 31
	s_ashr_i32 s3, s22, 31
	s_mul_hi_u32 s1, s5, s1
	s_xor_b32 s2, s2, s3
	s_mul_i32 s3, s1, s0
	s_sub_i32 s3, s5, s3
	s_add_i32 s5, s1, 1
	s_sub_i32 s6, s3, s0
	s_cmp_ge_u32 s3, s0
	s_cselect_b32 s1, s5, s1
	s_cselect_b32 s3, s6, s3
	s_add_i32 s5, s1, 1
	s_cmp_ge_u32 s3, s0
	s_cselect_b32 s0, s5, s1
	s_xor_b32 s0, s0, s2
	s_sub_i32 s5, s0, s2
	v_cvt_f32_u32_e32 v1, s5
	s_bitcmp1_b32 s23, 0
	s_cselect_b64 s[0:1], -1, 0
	s_sub_i32 s2, 0, s5
	v_rcp_iflag_f32_e32 v1, v1
	s_xor_b64 s[0:1], s[0:1], -1
	v_ashrrev_i32_e32 v9, 31, v8
	v_lshrrev_b32_e32 v2, 29, v9
	v_mul_f32_e32 v1, 0x4f7ffffe, v1
	v_cvt_u32_f32_e32 v1, v1
	v_add_u32_e32 v2, v8, v2
	v_ashrrev_i32_e32 v30, 3, v2
	v_mov_b32_e32 v10, 0
	v_readfirstlane_b32 s3, v1
	s_mul_i32 s2, s2, s3
	s_mul_hi_u32 s2, s3, s2
	s_add_i32 s3, s3, s2
	s_mul_hi_u32 s2, s24, s3
	s_mul_i32 s3, s2, s5
	s_sub_i32 s3, s24, s3
	s_add_i32 s6, s2, 1
	s_sub_i32 s8, s3, s5
	s_cmp_ge_u32 s3, s5
	s_cselect_b32 s2, s6, s2
	s_cselect_b32 s3, s8, s3
	s_add_i32 s6, s2, 1
	s_cmp_ge_u32 s3, s5
	s_cselect_b32 s6, s6, s2
	s_mul_i32 s2, s6, s20
	s_ashr_i32 s3, s2, 31
	s_lshr_b32 s3, s3, 29
	v_add_u32_e32 v2, s2, v8
	s_add_i32 s2, s2, s3
	v_ashrrev_i32_e32 v3, 31, v2
	s_ashr_i32 s2, s2, 3
	v_lshlrev_b64 v[2:3], 1, v[2:3]
	v_add_u32_e32 v4, s2, v30
	v_mov_b32_e32 v1, s17
	v_add_co_u32_e32 v2, vcc, s16, v2
	v_ashrrev_i32_e32 v5, 31, v4
	v_addc_co_u32_e32 v3, vcc, v1, v3, vcc
	v_lshlrev_b64 v[4:5], 2, v[4:5]
	v_mov_b32_e32 v1, s15
	v_add_co_u32_e32 v4, vcc, s14, v4
	v_addc_co_u32_e32 v5, vcc, v1, v5, vcc
	global_load_dword v4, v[4:5], off
	v_lshlrev_b32_e32 v5, 4, v0
	global_load_dwordx2 v[2:3], v[2:3], off
	v_lshlrev_b64 v[0:1], 2, v[8:9]
	v_cndmask_b32_e64 v9, 0, 1, s[0:1]
	s_lshr_b32 s0, s24, 3
	s_mul_i32 s0, s0, s20
	s_ashr_i32 s1, s0, 31
	s_lshl_b64 s[0:1], s[0:1], 2
	s_add_u32 s11, s12, s0
	s_addc_u32 s0, s13, s1
	v_and_b32_e32 v31, 16, v5
	v_mov_b32_e32 v6, s0
	v_add_co_u32_e32 v16, vcc, s11, v0
	v_addc_co_u32_e32 v17, vcc, v6, v1, vcc
	s_mov_b32 s8, 0x5040100
	s_ashr_i32 s21, s20, 31
	s_movk_i32 s9, 0x2c00
	v_mov_b32_e32 v11, v10
	v_mov_b32_e32 v14, v10
	v_mov_b32_e32 v15, v10
	v_mov_b32_e32 v24, v10
	v_mov_b32_e32 v25, v10
	v_mov_b32_e32 v22, v10
	v_mov_b32_e32 v23, v10
	v_mov_b32_e32 v12, v10
	v_mov_b32_e32 v13, v10
	v_mov_b32_e32 v26, v10
	s_add_i32 s10, s5, s24
	s_lshl_b64 s[0:1], s[20:21], 4
	s_lshl_b64 s[2:3], s[20:21], 2
	v_mov_b32_e32 v27, v10
	s_waitcnt vmcnt(1)
	v_lshrrev_b32_e32 v0, v5, v4
	v_bfe_u32 v1, v4, v31, 4
	s_waitcnt vmcnt(0)
	v_cvt_f32_f16_e32 v18, v2
	v_cvt_f32_f16_sdwa v19, v2 dst_sel:DWORD dst_unused:UNUSED_PAD src0_sel:WORD_1
	v_cvt_f32_f16_e32 v20, v3
	v_cvt_f32_f16_sdwa v21, v3 dst_sel:DWORD dst_unused:UNUSED_PAD src0_sel:WORD_1
	v_bfe_u32 v2, v0, 12, 4
	v_bfe_u32 v3, v0, 8, 4
	;; [unrolled: 1-line block ×3, first 2 shown]
	v_add_u32_e32 v1, v1, v9
	v_add_u32_e32 v2, v2, v9
	;; [unrolled: 1-line block ×4, first 2 shown]
	v_cvt_f32_ubyte0_e32 v4, v1
	v_or_b32_e32 v1, 0xffffe400, v1
	v_cvt_f32_ubyte0_e32 v5, v2
	v_or_b32_e32 v2, 0xffffe400, v2
	;; [unrolled: 2-line block ×3, first 2 shown]
	v_cvt_f32_ubyte0_e32 v7, v0
	v_cvt_f16_f32_e32 v4, v4
	v_perm_b32 v32, v1, v1, s8
	v_cvt_f16_f32_e32 v1, v5
	v_perm_b32 v35, v2, v2, s8
	;; [unrolled: 2-line block ×3, first 2 shown]
	v_cvt_f16_f32_e32 v3, v7
	v_or_b32_e32 v0, 0xffffe400, v0
	v_perm_b32 v33, v0, v0, s8
	v_sub_f16_e32 v0, 0xd400, v4
	v_sub_f16_e32 v1, 0xd400, v1
	;; [unrolled: 1-line block ×4, first 2 shown]
	v_pack_b32_f16 v36, v0, v0
	v_pack_b32_f16 v39, v1, v1
	;; [unrolled: 1-line block ×4, first 2 shown]
	s_branch .LBB25_12
.LBB25_11:                              ;   in Loop: Header=BB25_12 Depth=1
	global_load_dwordx4 v[0:3], v[16:17], off
	v_add_co_u32_e32 v28, vcc, s2, v16
	v_mov_b32_e32 v53, s3
	v_mov_b32_e32 v44, s4
	v_addc_co_u32_e32 v29, vcc, v17, v53, vcc
	ds_read2_b32 v[40:41], v44 offset1:1
	ds_read2_b32 v[42:43], v44 offset0:2 offset1:3
	ds_read2_b32 v[46:47], v44 offset0:64 offset1:65
	;; [unrolled: 1-line block ×3, first 2 shown]
	global_load_dwordx4 v[4:7], v[28:29], off
	s_add_i32 s24, s24, 32
	s_add_i32 s4, s4, 64
	s_cmp_ge_i32 s24, s25
	s_waitcnt vmcnt(1)
	v_and_b32_e32 v45, 0xf000f, v0
	v_and_b32_e32 v50, 0xf000f0, v0
	v_lshrrev_b32_e32 v0, 8, v0
	v_and_b32_e32 v52, 0xf000f0, v1
	v_and_b32_e32 v56, 0xf000f, v3
	;; [unrolled: 1-line block ×3, first 2 shown]
	v_lshrrev_b32_e32 v3, 8, v3
	v_or_b32_e32 v45, 0x64006400, v45
	v_and_b32_e32 v58, 0xf000f, v0
	v_and_b32_e32 v0, 0xf000f0, v0
	v_or_b32_e32 v50, 0x64006400, v50
	v_or_b32_e32 v52, 0x64006400, v52
	v_and_b32_e32 v61, 0xf000f, v3
	v_or_b32_e32 v0, 0x64006400, v0
	v_pk_add_f16 v45, v32, v45
	v_and_b32_e32 v51, 0xf000f, v1
	v_lshrrev_b32_e32 v1, 8, v1
	v_and_b32_e32 v54, 0xf000f, v2
	v_or_b32_e32 v58, 0x64006400, v58
	v_pk_fma_f16 v50, v50, s9, v36 op_sel_hi:[1,0,1]
	v_pk_fma_f16 v63, v52, s9, v37 op_sel_hi:[1,0,1]
	v_or_b32_e32 v52, 0x64006400, v61
	v_pk_fma_f16 v61, v0, s9, v36 op_sel_hi:[1,0,1]
	s_waitcnt lgkmcnt(3)
	v_pk_fma_f16 v0, v45, v40, 0
	v_and_b32_e32 v55, 0xf000f0, v2
	v_lshrrev_b32_e32 v2, 8, v2
	v_or_b32_e32 v51, 0x64006400, v51
	v_and_b32_e32 v59, 0xf000f, v1
	v_and_b32_e32 v1, 0xf000f0, v1
	v_or_b32_e32 v54, 0x64006400, v54
	v_pk_add_f16 v58, v32, v58
	v_pk_fma_f16 v0, v50, v41, v0
	v_or_b32_e32 v55, 0x64006400, v55
	v_and_b32_e32 v60, 0xf000f, v2
	v_and_b32_e32 v2, 0xf000f0, v2
	v_or_b32_e32 v56, 0x64006400, v56
	v_and_b32_e32 v3, 0xf000f0, v3
	v_or_b32_e32 v1, 0x64006400, v1
	v_pk_add_f16 v62, v33, v51
	v_pk_add_f16 v64, v34, v54
	s_waitcnt lgkmcnt(2)
	v_pk_fma_f16 v0, v58, v42, v0
	v_or_b32_e32 v59, 0x64006400, v59
	v_or_b32_e32 v51, 0x64006400, v60
	;; [unrolled: 1-line block ×3, first 2 shown]
	v_pk_fma_f16 v65, v55, s9, v38 op_sel_hi:[1,0,1]
	v_or_b32_e32 v3, 0x64006400, v3
	v_pk_add_f16 v56, v35, v56
	v_pk_fma_f16 v67, v1, s9, v37 op_sel_hi:[1,0,1]
	v_pk_fma_f16 v1, v62, v40, 0
	v_pk_fma_f16 v54, v61, v43, v0
	s_waitcnt lgkmcnt(1)
	v_pk_fma_f16 v0, v64, v46, 0
	v_or_b32_e32 v57, 0x64006400, v57
	v_pk_add_f16 v66, v33, v59
	v_pk_add_f16 v68, v34, v51
	v_pk_fma_f16 v69, v2, s9, v38 op_sel_hi:[1,0,1]
	v_pk_fma_f16 v71, v3, s9, v39 op_sel_hi:[1,0,1]
	v_pk_fma_f16 v2, v64, v40, 0
	v_pk_fma_f16 v3, v56, v40, 0
	;; [unrolled: 1-line block ×5, first 2 shown]
	v_pk_fma_f16 v57, v57, s9, v39 op_sel_hi:[1,0,1]
	v_pk_fma_f16 v51, v62, v46, 0
	v_pk_fma_f16 v2, v65, v41, v2
	;; [unrolled: 1-line block ×4, first 2 shown]
	s_waitcnt lgkmcnt(0)
	v_pk_fma_f16 v0, v68, v48, v0
	v_pk_fma_f16 v3, v57, v41, v3
	;; [unrolled: 1-line block ×7, first 2 shown]
	ds_read2_b32 v[0:1], v44 offset0:128 offset1:129
	v_pk_fma_f16 v59, v69, v43, v2
	v_pk_fma_f16 v2, v61, v49, v40
	;; [unrolled: 1-line block ×4, first 2 shown]
	ds_read2_b32 v[46:47], v44 offset0:130 offset1:131
	v_pk_add_f16 v70, v35, v52
	v_pk_fma_f16 v40, v70, v48, v40
	v_pk_fma_f16 v52, v71, v49, v40
	s_waitcnt lgkmcnt(1)
	v_pk_fma_f16 v40, v45, v0, 0
	v_pk_fma_f16 v40, v50, v1, v40
	s_waitcnt lgkmcnt(0)
	v_pk_fma_f16 v40, v58, v46, v40
	v_pk_fma_f16 v3, v70, v42, v3
	;; [unrolled: 1-line block ×16, first 2 shown]
	s_waitcnt vmcnt(0)
	v_and_b32_e32 v0, 0xf000f, v4
	v_and_b32_e32 v1, 0xf000f0, v4
	v_lshrrev_b32_e32 v4, 8, v4
	v_and_b32_e32 v45, 0xf000f, v4
	v_and_b32_e32 v4, 0xf000f0, v4
	v_pk_fma_f16 v40, v68, v46, v40
	v_or_b32_e32 v0, 0x64006400, v0
	v_or_b32_e32 v1, 0x64006400, v1
	;; [unrolled: 1-line block ×4, first 2 shown]
	v_pk_add_f16 v45, v32, v0
	v_pk_fma_f16 v63, v1, s9, v36 op_sel_hi:[1,0,1]
	v_pk_add_f16 v0, v32, v46
	v_pk_fma_f16 v1, v4, s9, v36 op_sel_hi:[1,0,1]
	v_and_b32_e32 v4, 0xf000f, v5
	v_and_b32_e32 v46, 0xf000f0, v5
	v_lshrrev_b32_e32 v5, 8, v5
	v_pk_fma_f16 v40, v69, v47, v40
	v_and_b32_e32 v47, 0xf000f, v5
	v_and_b32_e32 v5, 0xf000f0, v5
	v_or_b32_e32 v4, 0x64006400, v4
	v_or_b32_e32 v46, 0x64006400, v46
	;; [unrolled: 1-line block ×4, first 2 shown]
	v_pk_add_f16 v64, v33, v4
	v_pk_fma_f16 v65, v46, s9, v37 op_sel_hi:[1,0,1]
	v_pk_fma_f16 v46, v5, s9, v37 op_sel_hi:[1,0,1]
	v_and_b32_e32 v4, 0xf000f, v6
	v_and_b32_e32 v5, 0xf000f0, v6
	v_lshrrev_b32_e32 v6, 8, v6
	v_pk_add_f16 v66, v33, v47
	v_and_b32_e32 v47, 0xf000f, v6
	v_and_b32_e32 v6, 0xf000f0, v6
	v_or_b32_e32 v6, 0x64006400, v6
	v_or_b32_e32 v4, 0x64006400, v4
	;; [unrolled: 1-line block ×3, first 2 shown]
	v_pk_fma_f16 v50, v6, s9, v38 op_sel_hi:[1,0,1]
	v_lshrrev_b32_e32 v6, 8, v7
	v_or_b32_e32 v49, 0x64006400, v47
	v_pk_add_f16 v47, v34, v4
	v_pk_fma_f16 v48, v5, s9, v38 op_sel_hi:[1,0,1]
	v_and_b32_e32 v4, 0xf000f, v7
	v_and_b32_e32 v5, 0xf000f0, v7
	;; [unrolled: 1-line block ×4, first 2 shown]
	v_or_b32_e32 v56, 0x64006400, v7
	v_or_b32_e32 v57, 0x64006400, v6
	ds_read2_b32 v[6:7], v44 offset0:4 offset1:5
	ds_read2_b32 v[68:69], v44 offset0:6 offset1:7
	;; [unrolled: 1-line block ×3, first 2 shown]
	v_or_b32_e32 v4, 0x64006400, v4
	v_pk_add_f16 v58, v35, v4
	s_waitcnt lgkmcnt(2)
	v_pk_fma_f16 v4, v45, v6, 0
	v_pk_fma_f16 v4, v63, v7, v4
	s_waitcnt lgkmcnt(1)
	v_pk_fma_f16 v4, v0, v68, v4
	v_pk_add_f16 v73, v35, v56
	v_pk_fma_f16 v56, v1, v69, v4
	v_pk_fma_f16 v4, v64, v6, 0
	;; [unrolled: 1-line block ×3, first 2 shown]
	v_or_b32_e32 v5, 0x64006400, v5
	v_pk_fma_f16 v4, v66, v68, v4
	v_pk_fma_f16 v72, v5, s9, v39 op_sel_hi:[1,0,1]
	v_pk_fma_f16 v74, v57, s9, v39 op_sel_hi:[1,0,1]
	v_pk_fma_f16 v57, v46, v69, v4
	v_pk_fma_f16 v4, v47, v6, 0
	v_pk_fma_f16 v5, v58, v6, 0
	v_pk_add_f16 v49, v34, v49
	v_pk_fma_f16 v4, v48, v7, v4
	v_pk_fma_f16 v5, v72, v7, v5
	v_pk_fma_f16 v4, v49, v68, v4
	v_pk_fma_f16 v5, v73, v68, v5
	v_pk_fma_f16 v4, v50, v69, v4
	v_pk_fma_f16 v5, v74, v69, v5
	ds_read2_b32 v[68:69], v44 offset0:70 offset1:71
	s_waitcnt lgkmcnt(1)
	v_pk_fma_f16 v6, v45, v70, 0
	v_pk_fma_f16 v7, v64, v70, 0
	v_pk_fma_f16 v61, v47, v70, 0
	v_pk_fma_f16 v62, v58, v70, 0
	v_pk_fma_f16 v6, v63, v71, v6
	v_pk_fma_f16 v7, v65, v71, v7
	v_pk_fma_f16 v61, v48, v71, v61
	v_pk_fma_f16 v62, v72, v71, v62
	ds_read2_b32 v[70:71], v44 offset0:134 offset1:135
	s_waitcnt lgkmcnt(1)
	v_pk_fma_f16 v6, v0, v68, v6
	v_pk_fma_f16 v7, v66, v68, v7
	;; [unrolled: 10-line block ×3, first 2 shown]
	v_pk_fma_f16 v0, v0, v70, v45
	v_pk_fma_f16 v45, v1, v71, v0
	;; [unrolled: 1-line block ×5, first 2 shown]
	v_add_co_u32_e32 v0, vcc, s2, v28
	v_addc_co_u32_e32 v1, vcc, v29, v53, vcc
	global_load_dwordx4 v[64:67], v[0:1], off
	v_pk_fma_f16 v28, v47, v68, 0
	v_pk_fma_f16 v28, v48, v69, v28
	;; [unrolled: 1-line block ×9, first 2 shown]
	v_add_co_u32_e32 v0, vcc, s2, v0
	v_addc_co_u32_e32 v1, vcc, v1, v53, vcc
	v_add_co_u32_e32 v16, vcc, s0, v16
	s_waitcnt vmcnt(0)
	v_and_b32_e32 v48, 0xf000f0, v64
	v_or_b32_e32 v48, 0x64006400, v48
	v_pk_fma_f16 v58, v48, s9, v36 op_sel_hi:[1,0,1]
	v_and_b32_e32 v48, 0xf000f, v65
	v_and_b32_e32 v49, 0xf000f0, v65
	v_or_b32_e32 v48, 0x64006400, v48
	v_or_b32_e32 v49, 0x64006400, v49
	v_and_b32_e32 v47, 0xf000f, v64
	v_lshrrev_b32_e32 v50, 8, v64
	v_lshrrev_b32_e32 v63, 8, v65
	v_pk_add_f16 v64, v33, v48
	v_pk_fma_f16 v65, v49, s9, v37 op_sel_hi:[1,0,1]
	v_and_b32_e32 v48, 0xf000f, v66
	v_and_b32_e32 v49, 0xf000f0, v66
	v_or_b32_e32 v48, 0x64006400, v48
	v_or_b32_e32 v49, 0x64006400, v49
	v_pk_add_f16 v68, v34, v48
	v_pk_fma_f16 v69, v49, s9, v38 op_sel_hi:[1,0,1]
	ds_read2_b32 v[48:49], v44 offset0:8 offset1:9
	v_and_b32_e32 v70, 0xf000f, v67
	v_or_b32_e32 v47, 0x64006400, v47
	v_and_b32_e32 v71, 0xf000f0, v67
	v_or_b32_e32 v70, 0x64006400, v70
	v_pk_add_f16 v47, v32, v47
	v_or_b32_e32 v71, 0x64006400, v71
	v_pk_add_f16 v70, v35, v70
	v_pk_fma_f16 v71, v71, s9, v39 op_sel_hi:[1,0,1]
	s_waitcnt lgkmcnt(0)
	v_pk_fma_f16 v72, v47, v48, 0
	v_pk_fma_f16 v73, v64, v48, 0
	v_pk_fma_f16 v74, v68, v48, 0
	v_pk_fma_f16 v48, v70, v48, 0
	v_pk_fma_f16 v72, v58, v49, v72
	v_pk_fma_f16 v73, v65, v49, v73
	v_pk_fma_f16 v74, v69, v49, v74
	v_pk_fma_f16 v75, v71, v49, v48
	ds_read2_b32 v[48:49], v44 offset0:72 offset1:73
	v_lshrrev_b32_e32 v66, 8, v66
	v_lshrrev_b32_e32 v67, 8, v67
	s_waitcnt lgkmcnt(0)
	v_pk_fma_f16 v76, v47, v48, 0
	v_pk_fma_f16 v77, v64, v48, 0
	;; [unrolled: 1-line block ×8, first 2 shown]
	ds_read2_b32 v[48:49], v44 offset0:136 offset1:137
	s_waitcnt lgkmcnt(0)
	v_pk_fma_f16 v47, v47, v48, 0
	v_pk_fma_f16 v47, v58, v49, v47
	;; [unrolled: 1-line block ×8, first 2 shown]
	v_and_b32_e32 v48, 0xf000f, v50
	v_and_b32_e32 v49, 0xf000f0, v50
	v_or_b32_e32 v48, 0x64006400, v48
	v_or_b32_e32 v49, 0x64006400, v49
	v_pk_add_f16 v50, v32, v48
	v_pk_fma_f16 v80, v49, s9, v36 op_sel_hi:[1,0,1]
	v_and_b32_e32 v48, 0xf000f, v63
	v_and_b32_e32 v49, 0xf000f0, v63
	v_or_b32_e32 v48, 0x64006400, v48
	v_or_b32_e32 v49, 0x64006400, v49
	v_pk_add_f16 v81, v33, v48
	v_pk_fma_f16 v82, v49, s9, v37 op_sel_hi:[1,0,1]
	;; [unrolled: 6-line block ×4, first 2 shown]
	ds_read2_b32 v[48:49], v44 offset0:10 offset1:11
	s_waitcnt lgkmcnt(0)
	v_pk_fma_f16 v58, v50, v48, v72
	v_pk_fma_f16 v63, v81, v48, v73
	;; [unrolled: 1-line block ×8, first 2 shown]
	ds_read2_b32 v[48:49], v44 offset0:74 offset1:75
	ds_read2_b32 v[72:73], v44 offset0:138 offset1:139
	s_waitcnt lgkmcnt(1)
	v_pk_fma_f16 v65, v50, v48, v76
	v_pk_fma_f16 v67, v80, v49, v65
	v_pk_fma_f16 v65, v81, v48, v77
	v_pk_fma_f16 v68, v82, v49, v65
	v_pk_fma_f16 v65, v83, v48, v78
	v_pk_fma_f16 v48, v85, v48, v79
	global_load_dwordx4 v[76:79], v[0:1], off
	v_cvt_f32_f16_e32 v1, v55
	v_cvt_f32_f16_e32 v0, v54
	v_cvt_f32_f16_sdwa v55, v55 dst_sel:DWORD dst_unused:UNUSED_PAD src0_sel:WORD_1
	v_cvt_f32_f16_sdwa v54, v54 dst_sel:DWORD dst_unused:UNUSED_PAD src0_sel:WORD_1
	s_waitcnt lgkmcnt(0)
	v_pk_fma_f16 v47, v50, v72, v47
	v_pk_fma_f16 v65, v84, v49, v65
	;; [unrolled: 1-line block ×3, first 2 shown]
	v_pk_add_f32 v[0:1], v[0:1], v[54:55]
	v_pk_fma_f32 v[0:1], v[0:1], v[18:19], v[26:27]
	v_cvt_f32_f16_e32 v27, v57
	v_cvt_f32_f16_e32 v26, v56
	v_cvt_f32_f16_sdwa v55, v57 dst_sel:DWORD dst_unused:UNUSED_PAD src0_sel:WORD_1
	v_cvt_f32_f16_sdwa v54, v56 dst_sel:DWORD dst_unused:UNUSED_PAD src0_sel:WORD_1
	v_pk_fma_f16 v49, v80, v73, v47
	v_pk_fma_f16 v47, v81, v72, v64
	;; [unrolled: 1-line block ×3, first 2 shown]
	v_pk_add_f32 v[26:27], v[26:27], v[54:55]
	v_pk_fma_f32 v[0:1], v[26:27], v[18:19], v[0:1]
	v_cvt_f32_f16_e32 v27, v63
	v_cvt_f32_f16_e32 v26, v58
	v_cvt_f32_f16_sdwa v55, v63 dst_sel:DWORD dst_unused:UNUSED_PAD src0_sel:WORD_1
	v_cvt_f32_f16_sdwa v54, v58 dst_sel:DWORD dst_unused:UNUSED_PAD src0_sel:WORD_1
	v_pk_fma_f16 v47, v83, v72, v69
	v_pk_fma_f16 v48, v85, v72, v71
	;; [unrolled: 1-line block ×4, first 2 shown]
	v_pk_add_f32 v[26:27], v[26:27], v[54:55]
	v_pk_fma_f32 v[0:1], v[26:27], v[18:19], v[0:1]
	s_waitcnt vmcnt(0)
	v_and_b32_e32 v53, 0xf000f, v76
	v_and_b32_e32 v64, 0xf000f0, v76
	v_lshrrev_b32_e32 v80, 8, v76
	v_and_b32_e32 v71, 0xf000f, v78
	v_and_b32_e32 v72, 0xf000f0, v78
	v_lshrrev_b32_e32 v76, 8, v78
	;; [unrolled: 3-line block ×3, first 2 shown]
	ds_read2_b32 v[78:79], v44 offset0:12 offset1:13
	v_and_b32_e32 v81, 0xf000f, v77
	v_or_b32_e32 v26, 0x64006400, v53
	v_and_b32_e32 v53, 0xf000f, v80
	v_and_b32_e32 v54, 0xf000f0, v80
	v_pk_add_f16 v63, v32, v26
	v_or_b32_e32 v26, 0x64006400, v81
	ds_read2_b32 v[80:81], v44 offset0:14 offset1:15
	v_and_b32_e32 v82, 0xf000f0, v77
	v_lshrrev_b32_e32 v77, 8, v77
	v_or_b32_e32 v27, 0x64006400, v64
	v_or_b32_e32 v53, 0x64006400, v53
	v_and_b32_e32 v56, 0xf000f0, v77
	v_or_b32_e32 v55, 0x64006400, v54
	v_pk_fma_f16 v64, v27, s9, v36 op_sel_hi:[1,0,1]
	v_pk_add_f16 v54, v32, v53
	v_and_b32_e32 v53, 0xf000f, v77
	v_or_b32_e32 v77, 0x64006400, v56
	v_pk_add_f16 v56, v33, v26
	s_waitcnt lgkmcnt(1)
	v_pk_fma_f16 v26, v63, v78, 0
	v_pk_fma_f16 v26, v64, v79, v26
	v_pk_fma_f16 v55, v55, s9, v36 op_sel_hi:[1,0,1]
	v_or_b32_e32 v27, 0x64006400, v82
	v_or_b32_e32 v53, 0x64006400, v53
	s_waitcnt lgkmcnt(0)
	v_pk_fma_f16 v26, v54, v80, v26
	v_pk_fma_f16 v57, v27, s9, v37 op_sel_hi:[1,0,1]
	v_pk_add_f16 v58, v33, v53
	v_pk_fma_f16 v53, v77, s9, v37 op_sel_hi:[1,0,1]
	v_pk_fma_f16 v77, v55, v81, v26
	v_pk_fma_f16 v26, v56, v78, 0
	;; [unrolled: 1-line block ×5, first 2 shown]
	v_cvt_f32_f16_e32 v27, v82
	v_cvt_f32_f16_e32 v26, v77
	v_cvt_f32_f16_sdwa v83, v82 dst_sel:DWORD dst_unused:UNUSED_PAD src0_sel:WORD_1
	v_cvt_f32_f16_sdwa v82, v77 dst_sel:DWORD dst_unused:UNUSED_PAD src0_sel:WORD_1
	v_and_b32_e32 v77, 0xf000f, v76
	v_and_b32_e32 v76, 0xf000f0, v76
	v_or_b32_e32 v77, 0x64006400, v77
	v_pk_add_f32 v[26:27], v[26:27], v[82:83]
	v_pk_fma_f32 v[26:27], v[26:27], v[18:19], v[0:1]
	v_or_b32_e32 v0, 0x64006400, v71
	v_or_b32_e32 v1, 0x64006400, v72
	v_pk_add_f16 v71, v34, v0
	v_or_b32_e32 v0, 0x64006400, v73
	v_pk_fma_f16 v72, v1, s9, v38 op_sel_hi:[1,0,1]
	v_or_b32_e32 v1, 0x64006400, v74
	v_pk_add_f16 v73, v35, v0
	v_pk_fma_f16 v74, v1, s9, v39 op_sel_hi:[1,0,1]
	v_pk_fma_f16 v0, v71, v78, 0
	v_pk_fma_f16 v1, v73, v78, 0
	v_or_b32_e32 v78, 0x64006400, v76
	v_pk_add_f16 v76, v34, v77
	v_pk_fma_f16 v77, v78, s9, v38 op_sel_hi:[1,0,1]
	v_and_b32_e32 v78, 0xf000f, v69
	v_pk_fma_f16 v0, v72, v79, v0
	v_or_b32_e32 v78, 0x64006400, v78
	v_and_b32_e32 v69, 0xf000f0, v69
	v_pk_fma_f16 v1, v74, v79, v1
	v_or_b32_e32 v69, 0x64006400, v69
	v_pk_add_f16 v78, v35, v78
	v_pk_fma_f16 v0, v76, v80, v0
	v_pk_fma_f16 v69, v69, s9, v39 op_sel_hi:[1,0,1]
	v_pk_fma_f16 v79, v77, v81, v0
	v_pk_fma_f16 v0, v78, v80, v1
	;; [unrolled: 1-line block ×3, first 2 shown]
	v_cvt_f32_f16_e32 v1, v60
	v_cvt_f32_f16_e32 v0, v59
	v_cvt_f32_f16_sdwa v81, v60 dst_sel:DWORD dst_unused:UNUSED_PAD src0_sel:WORD_1
	v_cvt_f32_f16_sdwa v80, v59 dst_sel:DWORD dst_unused:UNUSED_PAD src0_sel:WORD_1
	;; [unrolled: 1-line block ×3, first 2 shown]
	v_pk_add_f32 v[0:1], v[0:1], v[80:81]
	v_pk_fma_f32 v[0:1], v[0:1], v[20:21], v[12:13]
	v_cvt_f32_f16_e32 v13, v5
	v_cvt_f32_f16_e32 v12, v4
	v_cvt_f32_f16_sdwa v5, v5 dst_sel:DWORD dst_unused:UNUSED_PAD src0_sel:WORD_1
	v_cvt_f32_f16_sdwa v4, v4 dst_sel:DWORD dst_unused:UNUSED_PAD src0_sel:WORD_1
	ds_read2_b32 v[80:81], v44 offset0:76 offset1:77
	v_pk_add_f32 v[4:5], v[12:13], v[4:5]
	v_pk_fma_f32 v[0:1], v[4:5], v[20:21], v[0:1]
	v_cvt_f32_f16_e32 v5, v75
	v_cvt_f32_f16_e32 v4, v70
	v_cvt_f32_f16_sdwa v13, v75 dst_sel:DWORD dst_unused:UNUSED_PAD src0_sel:WORD_1
	v_cvt_f32_f16_sdwa v12, v70 dst_sel:DWORD dst_unused:UNUSED_PAD src0_sel:WORD_1
	v_pk_add_f32 v[4:5], v[4:5], v[12:13]
	v_pk_fma_f32 v[0:1], v[4:5], v[20:21], v[0:1]
	v_cvt_f32_f16_e32 v5, v82
	v_cvt_f32_f16_e32 v4, v79
	v_cvt_f32_f16_sdwa v13, v82 dst_sel:DWORD dst_unused:UNUSED_PAD src0_sel:WORD_1
	v_cvt_f32_f16_sdwa v12, v79 dst_sel:DWORD dst_unused:UNUSED_PAD src0_sel:WORD_1
	;; [unrolled: 6-line block ×3, first 2 shown]
	v_cvt_f32_f16_e32 v5, v7
	v_cvt_f32_f16_e32 v4, v6
	v_cvt_f32_f16_sdwa v7, v7 dst_sel:DWORD dst_unused:UNUSED_PAD src0_sel:WORD_1
	v_cvt_f32_f16_sdwa v6, v6 dst_sel:DWORD dst_unused:UNUSED_PAD src0_sel:WORD_1
	v_pk_add_f32 v[0:1], v[0:1], v[2:3]
	v_pk_fma_f32 v[2:3], v[0:1], v[18:19], v[22:23]
	v_cvt_f32_f16_e32 v1, v68
	v_pk_add_f32 v[4:5], v[4:5], v[6:7]
	v_cvt_f32_f16_e32 v0, v67
	v_cvt_f32_f16_sdwa v7, v68 dst_sel:DWORD dst_unused:UNUSED_PAD src0_sel:WORD_1
	v_cvt_f32_f16_sdwa v6, v67 dst_sel:DWORD dst_unused:UNUSED_PAD src0_sel:WORD_1
	v_pk_fma_f32 v[2:3], v[4:5], v[18:19], v[2:3]
	ds_read2_b32 v[4:5], v44 offset0:78 offset1:79
	v_pk_add_f32 v[0:1], v[0:1], v[6:7]
	s_waitcnt lgkmcnt(1)
	v_pk_fma_f16 v6, v63, v80, 0
	v_pk_fma_f16 v7, v56, v80, 0
	v_pk_fma_f16 v6, v64, v81, v6
	v_pk_fma_f16 v7, v57, v81, v7
	s_waitcnt lgkmcnt(0)
	v_pk_fma_f16 v6, v54, v4, v6
	v_pk_fma_f16 v7, v58, v4, v7
	;; [unrolled: 1-line block ×4, first 2 shown]
	v_pk_fma_f32 v[0:1], v[0:1], v[18:19], v[2:3]
	v_cvt_f32_f16_e32 v3, v7
	v_cvt_f32_f16_e32 v2, v6
	v_cvt_f32_f16_sdwa v7, v7 dst_sel:DWORD dst_unused:UNUSED_PAD src0_sel:WORD_1
	v_cvt_f32_f16_sdwa v6, v6 dst_sel:DWORD dst_unused:UNUSED_PAD src0_sel:WORD_1
	v_pk_add_f32 v[2:3], v[2:3], v[6:7]
	v_pk_fma_f32 v[22:23], v[2:3], v[18:19], v[0:1]
	v_pk_fma_f16 v0, v71, v80, 0
	v_pk_fma_f16 v0, v72, v81, v0
	;; [unrolled: 1-line block ×4, first 2 shown]
	v_cvt_f32_f16_e32 v1, v52
	v_cvt_f32_f16_e32 v0, v51
	v_cvt_f32_f16_sdwa v3, v52 dst_sel:DWORD dst_unused:UNUSED_PAD src0_sel:WORD_1
	v_cvt_f32_f16_sdwa v2, v51 dst_sel:DWORD dst_unused:UNUSED_PAD src0_sel:WORD_1
	v_pk_fma_f16 v6, v73, v80, 0
	v_pk_fma_f16 v6, v74, v81, v6
	;; [unrolled: 1-line block ×4, first 2 shown]
	v_pk_add_f32 v[0:1], v[0:1], v[2:3]
	v_cvt_f32_f16_e32 v3, v62
	v_cvt_f32_f16_e32 v2, v61
	v_cvt_f32_f16_sdwa v5, v62 dst_sel:DWORD dst_unused:UNUSED_PAD src0_sel:WORD_1
	v_cvt_f32_f16_sdwa v4, v61 dst_sel:DWORD dst_unused:UNUSED_PAD src0_sel:WORD_1
	v_cvt_f32_f16_e32 v7, v66
	v_cvt_f32_f16_e32 v6, v65
	v_cvt_f32_f16_sdwa v61, v66 dst_sel:DWORD dst_unused:UNUSED_PAD src0_sel:WORD_1
	v_pk_fma_f32 v[0:1], v[0:1], v[20:21], v[24:25]
	v_pk_add_f32 v[2:3], v[2:3], v[4:5]
	v_pk_fma_f32 v[0:1], v[2:3], v[20:21], v[0:1]
	v_pk_add_f32 v[24:25], v[6:7], v[60:61]
	v_cvt_f32_f16_e32 v5, v51
	v_cvt_f32_f16_e32 v4, v59
	v_cvt_f32_f16_sdwa v7, v51 dst_sel:DWORD dst_unused:UNUSED_PAD src0_sel:WORD_1
	v_cvt_f32_f16_sdwa v6, v59 dst_sel:DWORD dst_unused:UNUSED_PAD src0_sel:WORD_1
	ds_read2_b32 v[2:3], v44 offset0:140 offset1:141
	v_pk_fma_f32 v[24:25], v[24:25], v[20:21], v[0:1]
	ds_read2_b32 v[0:1], v44 offset0:142 offset1:143
	v_pk_add_f32 v[4:5], v[4:5], v[6:7]
	v_pk_fma_f32 v[24:25], v[4:5], v[20:21], v[24:25]
	s_waitcnt lgkmcnt(1)
	v_pk_fma_f16 v4, v63, v2, 0
	v_pk_fma_f16 v4, v64, v3, v4
	s_waitcnt lgkmcnt(0)
	v_pk_fma_f16 v4, v54, v0, v4
	v_pk_fma_f16 v52, v55, v1, v4
	;; [unrolled: 1-line block ×5, first 2 shown]
	v_cvt_f32_f16_e32 v5, v43
	v_cvt_f32_f16_e32 v4, v42
	v_cvt_f32_f16_sdwa v7, v43 dst_sel:DWORD dst_unused:UNUSED_PAD src0_sel:WORD_1
	v_cvt_f32_f16_sdwa v6, v42 dst_sel:DWORD dst_unused:UNUSED_PAD src0_sel:WORD_1
	v_cvt_f32_f16_e32 v43, v46
	v_cvt_f32_f16_e32 v42, v45
	v_cvt_f32_f16_sdwa v55, v46 dst_sel:DWORD dst_unused:UNUSED_PAD src0_sel:WORD_1
	v_cvt_f32_f16_sdwa v54, v45 dst_sel:DWORD dst_unused:UNUSED_PAD src0_sel:WORD_1
	v_pk_add_f32 v[4:5], v[4:5], v[6:7]
	v_pk_fma_f16 v46, v53, v1, v44
	v_pk_fma_f32 v[4:5], v[4:5], v[18:19], v[14:15]
	v_pk_add_f32 v[6:7], v[42:43], v[54:55]
	v_cvt_f32_f16_e32 v15, v50
	v_cvt_f32_f16_e32 v14, v49
	v_cvt_f32_f16_sdwa v43, v50 dst_sel:DWORD dst_unused:UNUSED_PAD src0_sel:WORD_1
	v_cvt_f32_f16_sdwa v42, v49 dst_sel:DWORD dst_unused:UNUSED_PAD src0_sel:WORD_1
	v_cvt_f32_f16_e32 v45, v46
	v_cvt_f32_f16_e32 v44, v52
	v_cvt_f32_f16_sdwa v51, v46 dst_sel:DWORD dst_unused:UNUSED_PAD src0_sel:WORD_1
	v_cvt_f32_f16_sdwa v50, v52 dst_sel:DWORD dst_unused:UNUSED_PAD src0_sel:WORD_1
	v_pk_fma_f32 v[4:5], v[6:7], v[18:19], v[4:5]
	v_pk_add_f32 v[6:7], v[14:15], v[42:43]
	v_pk_fma_f32 v[4:5], v[6:7], v[18:19], v[4:5]
	v_pk_add_f32 v[6:7], v[44:45], v[50:51]
	v_pk_fma_f32 v[14:15], v[6:7], v[18:19], v[4:5]
	v_pk_fma_f16 v4, v71, v2, 0
	v_pk_fma_f16 v4, v72, v3, v4
	v_pk_fma_f16 v2, v73, v2, 0
	v_pk_fma_f16 v4, v76, v0, v4
	v_pk_fma_f16 v2, v74, v3, v2
	v_pk_fma_f16 v42, v77, v1, v4
	v_pk_fma_f16 v0, v78, v0, v2
	v_cvt_f32_f16_e32 v3, v41
	v_cvt_f32_f16_e32 v2, v40
	v_cvt_f32_f16_sdwa v5, v41 dst_sel:DWORD dst_unused:UNUSED_PAD src0_sel:WORD_1
	v_cvt_f32_f16_sdwa v4, v40 dst_sel:DWORD dst_unused:UNUSED_PAD src0_sel:WORD_1
	v_cvt_f32_f16_e32 v7, v29
	v_cvt_f32_f16_e32 v6, v28
	v_cvt_f32_f16_sdwa v29, v29 dst_sel:DWORD dst_unused:UNUSED_PAD src0_sel:WORD_1
	v_cvt_f32_f16_sdwa v28, v28 dst_sel:DWORD dst_unused:UNUSED_PAD src0_sel:WORD_1
	v_pk_fma_f16 v40, v69, v1, v0
	v_pk_add_f32 v[0:1], v[2:3], v[4:5]
	v_cvt_f32_f16_e32 v5, v48
	v_pk_add_f32 v[2:3], v[6:7], v[28:29]
	v_cvt_f32_f16_e32 v4, v47
	v_cvt_f32_f16_sdwa v7, v48 dst_sel:DWORD dst_unused:UNUSED_PAD src0_sel:WORD_1
	v_cvt_f32_f16_sdwa v6, v47 dst_sel:DWORD dst_unused:UNUSED_PAD src0_sel:WORD_1
	v_pk_fma_f32 v[0:1], v[0:1], v[20:21], v[10:11]
	v_cvt_f32_f16_e32 v11, v40
	v_cvt_f32_f16_e32 v10, v42
	v_cvt_f32_f16_sdwa v29, v40 dst_sel:DWORD dst_unused:UNUSED_PAD src0_sel:WORD_1
	v_cvt_f32_f16_sdwa v28, v42 dst_sel:DWORD dst_unused:UNUSED_PAD src0_sel:WORD_1
	v_pk_fma_f32 v[0:1], v[2:3], v[20:21], v[0:1]
	v_pk_add_f32 v[2:3], v[4:5], v[6:7]
	v_pk_fma_f32 v[0:1], v[2:3], v[20:21], v[0:1]
	v_pk_add_f32 v[2:3], v[10:11], v[28:29]
	v_pk_fma_f32 v[10:11], v[2:3], v[20:21], v[0:1]
	v_mov_b32_e32 v0, s1
	v_addc_co_u32_e32 v17, vcc, v17, v0, vcc
	s_cbranch_scc1 .LBB25_14
.LBB25_12:                              ; =>This Inner Loop Header: Depth=1
	s_cmp_lg_u32 s24, s10
	s_cbranch_scc1 .LBB25_11
; %bb.13:                               ;   in Loop: Header=BB25_12 Depth=1
	s_add_i32 s6, s6, 1
	s_mul_i32 s11, s6, s20
	s_ashr_i32 s12, s11, 31
	s_lshr_b32 s12, s12, 29
	s_add_i32 s12, s11, s12
	v_add_u32_e32 v2, s11, v8
	s_ashr_i32 s12, s12, 3
	v_ashrrev_i32_e32 v3, 31, v2
	v_add_u32_e32 v0, s12, v30
	v_lshlrev_b64 v[2:3], 1, v[2:3]
	v_ashrrev_i32_e32 v1, 31, v0
	v_mov_b32_e32 v5, s17
	v_add_co_u32_e32 v2, vcc, s16, v2
	v_lshlrev_b64 v[0:1], 2, v[0:1]
	v_addc_co_u32_e32 v3, vcc, v5, v3, vcc
	v_mov_b32_e32 v4, s15
	v_add_co_u32_e32 v0, vcc, s14, v0
	v_addc_co_u32_e32 v1, vcc, v4, v1, vcc
	global_load_dword v0, v[0:1], off
	s_add_i32 s10, s10, s5
	global_load_dwordx2 v[2:3], v[2:3], off
	s_waitcnt vmcnt(1)
	v_lshrrev_b32_e32 v1, v31, v0
	v_bfe_u32 v0, v0, v31, 4
	s_waitcnt vmcnt(0)
	v_cvt_f32_f16_e32 v18, v2
	v_cvt_f32_f16_sdwa v19, v2 dst_sel:DWORD dst_unused:UNUSED_PAD src0_sel:WORD_1
	v_cvt_f32_f16_e32 v20, v3
	v_cvt_f32_f16_sdwa v21, v3 dst_sel:DWORD dst_unused:UNUSED_PAD src0_sel:WORD_1
	v_bfe_u32 v2, v1, 4, 4
	v_bfe_u32 v3, v1, 8, 4
	v_bfe_u32 v1, v1, 12, 4
	v_add_u32_e32 v0, v0, v9
	v_or_b32_e32 v4, 0xffffe400, v0
	v_cvt_f32_ubyte0_e32 v0, v0
	v_add_u32_e32 v2, v2, v9
	v_add_u32_e32 v3, v3, v9
	;; [unrolled: 1-line block ×3, first 2 shown]
	v_cvt_f16_f32_e32 v0, v0
	v_perm_b32 v32, v4, v4, s8
	v_or_b32_e32 v4, 0xffffe400, v2
	v_cvt_f32_ubyte0_e32 v2, v2
	v_or_b32_e32 v5, 0xffffe400, v3
	v_cvt_f32_ubyte0_e32 v3, v3
	;; [unrolled: 2-line block ×3, first 2 shown]
	v_cvt_f16_f32_e32 v2, v2
	v_cvt_f16_f32_e32 v3, v3
	;; [unrolled: 1-line block ×3, first 2 shown]
	v_sub_f16_e32 v0, 0xd400, v0
	v_pack_b32_f16 v36, v0, v0
	v_sub_f16_e32 v0, 0xd400, v2
	v_sub_f16_e32 v2, 0xd400, v3
	;; [unrolled: 1-line block ×3, first 2 shown]
	v_perm_b32 v33, v4, v4, s8
	v_perm_b32 v34, v5, v5, s8
	;; [unrolled: 1-line block ×3, first 2 shown]
	v_pack_b32_f16 v37, v0, v0
	v_pack_b32_f16 v38, v2, v2
	;; [unrolled: 1-line block ×3, first 2 shown]
	s_branch .LBB25_11
.LBB25_14:
	v_cvt_f16_f32_e32 v0, v27
	v_cvt_f16_f32_e32 v1, v26
	;; [unrolled: 1-line block ×5, first 2 shown]
	v_pack_b32_f16 v13, v1, v0
	v_cvt_f16_f32_e32 v0, v23
	v_pack_b32_f16 v12, v3, v2
	v_cvt_f16_f32_e32 v1, v22
	v_cvt_f16_f32_e32 v2, v25
	;; [unrolled: 1-line block ×6, first 2 shown]
	v_pack_b32_f16 v10, v1, v0
	v_pack_b32_f16 v9, v3, v2
	;; [unrolled: 1-line block ×4, first 2 shown]
.LBB25_15:
	s_mul_i32 s7, s7, s20
	v_add_u32_e32 v0, s7, v8
	v_ashrrev_i32_e32 v1, 31, v0
	v_lshlrev_b64 v[2:3], 1, v[0:1]
	v_mov_b32_e32 v1, s19
	v_add_co_u32_e32 v2, vcc, s18, v2
	v_addc_co_u32_e32 v3, vcc, v1, v3, vcc
	global_load_dword v5, v[2:3], off
	s_mov_b64 s[0:1], 0
.LBB25_16:                              ; =>This Inner Loop Header: Depth=1
	s_waitcnt vmcnt(0)
	v_pk_add_f16 v4, v13, v5
	global_atomic_cmpswap v1, v[2:3], v[4:5], off glc
	s_waitcnt vmcnt(0)
	v_cmp_eq_u32_e32 vcc, v5, v1
	s_or_b64 s[0:1], vcc, s[0:1]
	v_mov_b32_e32 v5, v1
	s_andn2_b64 exec, exec, s[0:1]
	s_cbranch_execnz .LBB25_16
; %bb.17:
	s_or_b64 exec, exec, s[0:1]
	global_load_dword v5, v[2:3], off offset:4
	s_mov_b64 s[0:1], 0
.LBB25_18:                              ; =>This Inner Loop Header: Depth=1
	s_waitcnt vmcnt(0)
	v_pk_add_f16 v4, v12, v5
	global_atomic_cmpswap v1, v[2:3], v[4:5], off offset:4 glc
	s_waitcnt vmcnt(0)
	v_cmp_eq_u32_e32 vcc, v5, v1
	s_or_b64 s[0:1], vcc, s[0:1]
	v_mov_b32_e32 v5, v1
	s_andn2_b64 exec, exec, s[0:1]
	s_cbranch_execnz .LBB25_18
; %bb.19:
	s_or_b64 exec, exec, s[0:1]
	v_add_u32_e32 v0, s20, v0
	v_ashrrev_i32_e32 v1, 31, v0
	v_lshlrev_b64 v[2:3], 1, v[0:1]
	v_mov_b32_e32 v1, s19
	v_add_co_u32_e32 v2, vcc, s18, v2
	v_addc_co_u32_e32 v3, vcc, v1, v3, vcc
	global_load_dword v5, v[2:3], off
	s_mov_b64 s[0:1], 0
.LBB25_20:                              ; =>This Inner Loop Header: Depth=1
	s_waitcnt vmcnt(0)
	v_pk_add_f16 v4, v10, v5
	global_atomic_cmpswap v1, v[2:3], v[4:5], off glc
	s_waitcnt vmcnt(0)
	v_cmp_eq_u32_e32 vcc, v5, v1
	s_or_b64 s[0:1], vcc, s[0:1]
	v_mov_b32_e32 v5, v1
	s_andn2_b64 exec, exec, s[0:1]
	s_cbranch_execnz .LBB25_20
; %bb.21:
	s_or_b64 exec, exec, s[0:1]
	global_load_dword v5, v[2:3], off offset:4
	s_mov_b64 s[0:1], 0
.LBB25_22:                              ; =>This Inner Loop Header: Depth=1
	s_waitcnt vmcnt(0)
	v_pk_add_f16 v4, v9, v5
	global_atomic_cmpswap v1, v[2:3], v[4:5], off offset:4 glc
	s_waitcnt vmcnt(0)
	v_cmp_eq_u32_e32 vcc, v5, v1
	s_or_b64 s[0:1], vcc, s[0:1]
	v_mov_b32_e32 v5, v1
	s_andn2_b64 exec, exec, s[0:1]
	s_cbranch_execnz .LBB25_22
; %bb.23:
	s_or_b64 exec, exec, s[0:1]
	v_add_u32_e32 v0, s20, v0
	v_ashrrev_i32_e32 v1, 31, v0
	v_lshlrev_b64 v[0:1], 1, v[0:1]
	v_mov_b32_e32 v2, s19
	v_add_co_u32_e32 v0, vcc, s18, v0
	v_addc_co_u32_e32 v1, vcc, v2, v1, vcc
	global_load_dword v3, v[0:1], off
	s_mov_b64 s[0:1], 0
.LBB25_24:                              ; =>This Inner Loop Header: Depth=1
	s_waitcnt vmcnt(0)
	v_pk_add_f16 v2, v7, v3
	global_atomic_cmpswap v2, v[0:1], v[2:3], off glc
	s_waitcnt vmcnt(0)
	v_cmp_eq_u32_e32 vcc, v3, v2
	s_or_b64 s[0:1], vcc, s[0:1]
	v_mov_b32_e32 v3, v2
	s_andn2_b64 exec, exec, s[0:1]
	s_cbranch_execnz .LBB25_24
; %bb.25:
	s_or_b64 exec, exec, s[0:1]
	global_load_dword v3, v[0:1], off offset:4
	s_mov_b64 s[0:1], 0
.LBB25_26:                              ; =>This Inner Loop Header: Depth=1
	s_waitcnt vmcnt(0)
	v_pk_add_f16 v2, v6, v3
	global_atomic_cmpswap v2, v[0:1], v[2:3], off offset:4 glc
	s_waitcnt vmcnt(0)
	v_cmp_eq_u32_e32 vcc, v3, v2
	s_or_b64 s[0:1], vcc, s[0:1]
	v_mov_b32_e32 v3, v2
	s_andn2_b64 exec, exec, s[0:1]
	s_cbranch_execnz .LBB25_26
.LBB25_27:
	s_endpgm
	.section	.rodata,"a",@progbits
	.p2align	6, 0x0
	.amdhsa_kernel _ZN4vllm4gptq33gemm_half_q_half_gptq_4bit_kernelILb1ELi3EEEvPK6__halfPKjS6_S4_PS2_iiiibPKi
		.amdhsa_group_segment_fixed_size 768
		.amdhsa_private_segment_fixed_size 0
		.amdhsa_kernarg_size 72
		.amdhsa_user_sgpr_count 6
		.amdhsa_user_sgpr_private_segment_buffer 1
		.amdhsa_user_sgpr_dispatch_ptr 0
		.amdhsa_user_sgpr_queue_ptr 0
		.amdhsa_user_sgpr_kernarg_segment_ptr 1
		.amdhsa_user_sgpr_dispatch_id 0
		.amdhsa_user_sgpr_flat_scratch_init 0
		.amdhsa_user_sgpr_kernarg_preload_length 0
		.amdhsa_user_sgpr_kernarg_preload_offset 0
		.amdhsa_user_sgpr_private_segment_size 0
		.amdhsa_uses_dynamic_stack 0
		.amdhsa_system_sgpr_private_segment_wavefront_offset 0
		.amdhsa_system_sgpr_workgroup_id_x 1
		.amdhsa_system_sgpr_workgroup_id_y 1
		.amdhsa_system_sgpr_workgroup_id_z 1
		.amdhsa_system_sgpr_workgroup_info 0
		.amdhsa_system_vgpr_workitem_id 0
		.amdhsa_next_free_vgpr 87
		.amdhsa_next_free_sgpr 26
		.amdhsa_accum_offset 88
		.amdhsa_reserve_vcc 1
		.amdhsa_reserve_flat_scratch 0
		.amdhsa_float_round_mode_32 0
		.amdhsa_float_round_mode_16_64 0
		.amdhsa_float_denorm_mode_32 3
		.amdhsa_float_denorm_mode_16_64 3
		.amdhsa_dx10_clamp 1
		.amdhsa_ieee_mode 1
		.amdhsa_fp16_overflow 0
		.amdhsa_tg_split 0
		.amdhsa_exception_fp_ieee_invalid_op 0
		.amdhsa_exception_fp_denorm_src 0
		.amdhsa_exception_fp_ieee_div_zero 0
		.amdhsa_exception_fp_ieee_overflow 0
		.amdhsa_exception_fp_ieee_underflow 0
		.amdhsa_exception_fp_ieee_inexact 0
		.amdhsa_exception_int_div_zero 0
	.end_amdhsa_kernel
	.section	.text._ZN4vllm4gptq33gemm_half_q_half_gptq_4bit_kernelILb1ELi3EEEvPK6__halfPKjS6_S4_PS2_iiiibPKi,"axG",@progbits,_ZN4vllm4gptq33gemm_half_q_half_gptq_4bit_kernelILb1ELi3EEEvPK6__halfPKjS6_S4_PS2_iiiibPKi,comdat
.Lfunc_end25:
	.size	_ZN4vllm4gptq33gemm_half_q_half_gptq_4bit_kernelILb1ELi3EEEvPK6__halfPKjS6_S4_PS2_iiiibPKi, .Lfunc_end25-_ZN4vllm4gptq33gemm_half_q_half_gptq_4bit_kernelILb1ELi3EEEvPK6__halfPKjS6_S4_PS2_iiiibPKi
                                        ; -- End function
	.section	.AMDGPU.csdata,"",@progbits
; Kernel info:
; codeLenInByte = 6576
; NumSgprs: 30
; NumVgprs: 87
; NumAgprs: 0
; TotalNumVgprs: 87
; ScratchSize: 0
; MemoryBound: 0
; FloatMode: 240
; IeeeMode: 1
; LDSByteSize: 768 bytes/workgroup (compile time only)
; SGPRBlocks: 3
; VGPRBlocks: 10
; NumSGPRsForWavesPerEU: 30
; NumVGPRsForWavesPerEU: 87
; AccumOffset: 88
; Occupancy: 5
; WaveLimiterHint : 0
; COMPUTE_PGM_RSRC2:SCRATCH_EN: 0
; COMPUTE_PGM_RSRC2:USER_SGPR: 6
; COMPUTE_PGM_RSRC2:TRAP_HANDLER: 0
; COMPUTE_PGM_RSRC2:TGID_X_EN: 1
; COMPUTE_PGM_RSRC2:TGID_Y_EN: 1
; COMPUTE_PGM_RSRC2:TGID_Z_EN: 1
; COMPUTE_PGM_RSRC2:TIDIG_COMP_CNT: 0
; COMPUTE_PGM_RSRC3_GFX90A:ACCUM_OFFSET: 21
; COMPUTE_PGM_RSRC3_GFX90A:TG_SPLIT: 0
	.section	.text._ZN4vllm4gptq33gemm_half_q_half_gptq_8bit_kernelILb1ELi3EEEvPK6__halfPKjS6_S4_PS2_iiiibPKi,"axG",@progbits,_ZN4vllm4gptq33gemm_half_q_half_gptq_8bit_kernelILb1ELi3EEEvPK6__halfPKjS6_S4_PS2_iiiibPKi,comdat
	.protected	_ZN4vllm4gptq33gemm_half_q_half_gptq_8bit_kernelILb1ELi3EEEvPK6__halfPKjS6_S4_PS2_iiiibPKi ; -- Begin function _ZN4vllm4gptq33gemm_half_q_half_gptq_8bit_kernelILb1ELi3EEEvPK6__halfPKjS6_S4_PS2_iiiibPKi
	.globl	_ZN4vllm4gptq33gemm_half_q_half_gptq_8bit_kernelILb1ELi3EEEvPK6__halfPKjS6_S4_PS2_iiiibPKi
	.p2align	8
	.type	_ZN4vllm4gptq33gemm_half_q_half_gptq_8bit_kernelILb1ELi3EEEvPK6__halfPKjS6_S4_PS2_iiiibPKi,@function
_ZN4vllm4gptq33gemm_half_q_half_gptq_8bit_kernelILb1ELi3EEEvPK6__halfPKjS6_S4_PS2_iiiibPKi: ; @_ZN4vllm4gptq33gemm_half_q_half_gptq_8bit_kernelILb1ELi3EEEvPK6__halfPKjS6_S4_PS2_iiiibPKi
; %bb.0:
	s_mov_b64 s[30:31], s[2:3]
	s_load_dwordx8 s[12:19], s[4:5], 0x8
	s_load_dwordx4 s[20:23], s[4:5], 0x2c
	s_mov_b64 s[28:29], s[0:1]
	s_add_u32 s28, s28, s9
	s_addc_u32 s29, s29, 0
	s_lshl_b32 s24, s8, 7
	s_add_i32 s0, s24, 0x80
	v_cvt_f64_u32_e32 v[2:3], s0
	s_waitcnt lgkmcnt(0)
	v_cvt_f64_i32_e32 v[4:5], s21
	v_min_f64 v[2:3], v[2:3], v[4:5]
	v_cvt_i32_f64_e32 v1, v[2:3]
	v_add_u32_e32 v2, s24, v0
	s_mul_i32 s7, s7, 3
	v_readfirstlane_b32 s25, v1
	v_cmp_lt_u32_e32 vcc, v2, v1
	s_and_saveexec_b64 s[2:3], vcc
	s_cbranch_execz .LBB26_8
; %bb.1:
	s_load_dwordx2 s[0:1], s[4:5], 0x40
	s_load_dwordx2 s[8:9], s[4:5], 0x0
	v_mov_b32_e32 v3, 0
	v_lshlrev_b64 v[4:5], 2, v[2:3]
	v_pk_mov_b32 v[6:7], v[2:3], v[2:3] op_sel:[0,1]
	s_waitcnt lgkmcnt(0)
	s_cmp_lg_u64 s[0:1], 0
	v_mov_b32_e32 v1, s1
	v_add_co_u32_e32 v4, vcc, s0, v4
	s_cselect_b64 s[4:5], -1, 0
	s_cmp_eq_u64 s[0:1], 0
	v_addc_co_u32_e32 v5, vcc, v1, v5, vcc
	s_cbranch_scc1 .LBB26_3
; %bb.2:
	global_load_dword v6, v[4:5], off
	s_waitcnt vmcnt(0)
	v_ashrrev_i32_e32 v7, 31, v6
.LBB26_3:
	s_mul_i32 s10, s7, s21
	s_ashr_i32 s11, s10, 31
	s_lshl_b64 s[0:1], s[10:11], 1
	s_add_u32 s0, s8, s0
	s_addc_u32 s1, s9, s1
	v_lshlrev_b64 v[6:7], 1, v[6:7]
	v_mov_b32_e32 v1, s1
	v_add_co_u32_e32 v6, vcc, s0, v6
	v_addc_co_u32_e32 v7, vcc, v1, v7, vcc
	global_load_ushort v6, v[6:7], off
	v_lshlrev_b32_e32 v1, 1, v0
	v_cndmask_b32_e64 v7, 0, 1, s[4:5]
	v_cmp_ne_u32_e64 s[0:1], 1, v7
	s_andn2_b64 vcc, exec, s[4:5]
	s_waitcnt vmcnt(0)
	ds_write_b16 v1, v6
	v_pk_mov_b32 v[6:7], v[2:3], v[2:3] op_sel:[0,1]
	s_cbranch_vccnz .LBB26_5
; %bb.4:
	global_load_dword v6, v[4:5], off
	s_waitcnt vmcnt(0)
	v_ashrrev_i32_e32 v7, 31, v6
.LBB26_5:
	s_add_i32 s4, s10, s21
	s_ashr_i32 s5, s4, 31
	s_lshl_b64 s[10:11], s[4:5], 1
	s_add_u32 s5, s8, s10
	s_addc_u32 s10, s9, s11
	v_lshlrev_b64 v[6:7], 1, v[6:7]
	v_mov_b32_e32 v8, s10
	v_add_co_u32_e32 v6, vcc, s5, v6
	v_addc_co_u32_e32 v7, vcc, v8, v7, vcc
	global_load_ushort v6, v[6:7], off
	s_and_b64 vcc, exec, s[0:1]
	s_waitcnt vmcnt(0)
	ds_write_b16 v1, v6 offset:256
	s_cbranch_vccnz .LBB26_7
; %bb.6:
	global_load_dword v2, v[4:5], off
	s_waitcnt vmcnt(0)
	v_ashrrev_i32_e32 v3, 31, v2
.LBB26_7:
	s_add_i32 s0, s4, s21
	s_ashr_i32 s1, s0, 31
	s_lshl_b64 s[0:1], s[0:1], 1
	s_add_u32 s0, s8, s0
	s_addc_u32 s1, s9, s1
	v_lshlrev_b64 v[2:3], 1, v[2:3]
	v_mov_b32_e32 v4, s1
	v_add_co_u32_e32 v2, vcc, s0, v2
	v_addc_co_u32_e32 v3, vcc, v4, v3, vcc
	global_load_ushort v2, v[2:3], off
	s_waitcnt vmcnt(0)
	ds_write_b16 v1, v2 offset:512
.LBB26_8:
	s_or_b64 exec, exec, s[2:3]
	v_lshlrev_b32_e32 v0, 2, v0
	v_lshl_add_u32 v2, s6, 9, v0
	v_mov_b32_e32 v0, v2
	v_cmp_gt_i32_e32 vcc, s20, v2
	buffer_store_dword v0, off, s[28:31], 0 ; 4-byte Folded Spill
	s_nop 0
	buffer_store_dword v1, off, s[28:31], 0 offset:4 ; 4-byte Folded Spill
	s_and_saveexec_b64 s[0:1], vcc
	s_cbranch_execz .LBB26_26
; %bb.9:
	s_abs_i32 s0, s22
	v_cvt_f32_u32_e32 v0, s0
	s_mov_b32 s2, 0
	v_mov_b32_e32 v118, 0
	v_mov_b32_e32 v109, 0
	v_rcp_iflag_f32_e32 v0, v0
	v_mov_b32_e32 v106, 0
	v_mov_b32_e32 v104, 0
	s_cmp_ge_i32 s24, s25
	v_mul_f32_e32 v0, 0x4f7ffffe, v0
	v_cvt_u32_f32_e32 v0, v0
	v_mov_b32_e32 v103, 0
	v_mov_b32_e32 v69, 0
	s_waitcnt lgkmcnt(0)
	v_readfirstlane_b32 s1, v0
	s_barrier
	s_cbranch_scc1 .LBB26_14
; %bb.10:
	buffer_load_dword v2, off, s[28:31], 0  ; 4-byte Folded Reload
	buffer_load_dword v3, off, s[28:31], 0 offset:4 ; 4-byte Folded Reload
	s_sub_i32 s6, 0, s0
	s_mul_i32 s6, s6, s1
	s_mul_hi_u32 s6, s1, s6
	s_abs_i32 s5, s21
	s_add_i32 s1, s1, s6
	s_ashr_i32 s3, s21, 31
	s_ashr_i32 s4, s22, 31
	s_mul_hi_u32 s1, s5, s1
	s_xor_b32 s3, s3, s4
	s_mul_i32 s4, s1, s0
	s_sub_i32 s4, s5, s4
	s_add_i32 s5, s1, 1
	s_sub_i32 s6, s4, s0
	s_cmp_ge_u32 s4, s0
	s_cselect_b32 s1, s5, s1
	s_cselect_b32 s4, s6, s4
	s_add_i32 s5, s1, 1
	s_cmp_ge_u32 s4, s0
	s_cselect_b32 s0, s5, s1
	s_xor_b32 s0, s0, s3
	s_sub_i32 s3, s0, s3
	v_cvt_f32_u32_e32 v0, s3
	s_bitcmp1_b32 s23, 0
	s_cselect_b64 s[0:1], -1, 0
	s_sub_i32 s4, 0, s3
	v_rcp_iflag_f32_e32 v0, v0
	s_xor_b64 s[0:1], s[0:1], -1
	v_mov_b32_e32 v4, s17
	v_cndmask_b32_e64 v105, 0, 1, s[0:1]
	v_mul_f32_e32 v0, 0x4f7ffffe, v0
	v_cvt_u32_f32_e32 v0, v0
	v_mov_b32_e32 v69, 0
	v_mov_b32_e32 v103, 0
	;; [unrolled: 1-line block ×3, first 2 shown]
	v_readfirstlane_b32 s5, v0
	s_mul_i32 s4, s4, s5
	s_mul_hi_u32 s4, s5, s4
	s_add_i32 s5, s5, s4
	s_mul_hi_u32 s4, s24, s5
	s_mul_i32 s5, s4, s3
	s_sub_i32 s5, s24, s5
	s_add_i32 s6, s4, 1
	s_sub_i32 s8, s5, s3
	s_cmp_ge_u32 s5, s3
	s_cselect_b32 s4, s6, s4
	s_cselect_b32 s5, s8, s5
	s_add_i32 s6, s4, 1
	s_cmp_ge_u32 s5, s3
	s_cselect_b32 s4, s6, s4
	s_mul_i32 s6, s4, s20
	s_ashr_i32 s5, s6, 31
	s_lshr_b32 s5, s5, 30
	s_add_i32 s5, s6, s5
	s_ashr_i32 s5, s5, 2
	s_lshr_b32 s0, s24, 2
	s_mul_i32 s8, s0, s20
	s_ashr_i32 s9, s8, 31
	s_lshl_b64 s[22:23], s[8:9], 2
	s_ashr_i32 s21, s20, 31
	s_lshl_b64 s[0:1], s[20:21], 5
	s_lshl_b64 s[10:11], s[20:21], 2
	v_mov_b32_e32 v106, 0
	v_mov_b32_e32 v109, 0
	;; [unrolled: 1-line block ×3, first 2 shown]
	s_waitcnt vmcnt(1)
	v_mov_b32_e32 v6, v2
	v_ashrrev_i32_e32 v1, 2, v6
	v_add_u32_e32 v0, s5, v1
	buffer_store_dword v1, off, s[28:31], 0 offset:8 ; 4-byte Folded Spill
	v_ashrrev_i32_e32 v1, 31, v0
	v_lshlrev_b64 v[0:1], 2, v[0:1]
	v_mov_b32_e32 v2, s15
	v_add_co_u32_e32 v0, vcc, s14, v0
	v_addc_co_u32_e32 v1, vcc, v2, v1, vcc
	v_add_u32_e32 v2, s6, v6
	s_waitcnt vmcnt(1)
	v_ashrrev_i32_e32 v3, 31, v2
	v_lshlrev_b64 v[2:3], 1, v[2:3]
	v_add_co_u32_e32 v2, vcc, s16, v2
	v_ashrrev_i32_e32 v7, 31, v6
	v_addc_co_u32_e32 v3, vcc, v4, v3, vcc
	global_load_dword v8, v[0:1], off
	v_lshlrev_b64 v[0:1], 2, v[6:7]
	global_load_dwordx2 v[70:71], v[2:3], off
	v_add_co_u32_e32 v2, vcc, s8, v6
	buffer_store_dword v6, off, s[28:31], 0 ; 4-byte Folded Spill
	s_nop 0
	buffer_store_dword v7, off, s[28:31], 0 offset:4 ; 4-byte Folded Spill
	v_mov_b32_e32 v3, s9
	v_mov_b32_e32 v4, s23
	s_add_i32 s5, s3, s24
	s_add_u32 s6, s10, s22
	s_addc_u32 s10, s11, s23
	v_addc_co_u32_e32 v3, vcc, v3, v7, vcc
	v_add_co_u32_e32 v6, vcc, s22, v0
	v_addc_co_u32_e32 v7, vcc, v4, v1, vcc
	v_lshlrev_b64 v[4:5], 2, v[2:3]
	v_add_co_u32_e32 v107, vcc, 8, v6
	v_addc_co_u32_e32 v108, vcc, 0, v7, vcc
	v_mad_i64_i32 v[2:3], s[8:9], s20, 12, v[4:5]
	v_mad_i64_i32 v[6:7], s[8:9], s20, 20, v[4:5]
	v_add_co_u32_e32 v110, vcc, 8, v2
	s_lshl_b64 s[8:9], s[20:21], 3
	v_addc_co_u32_e32 v111, vcc, 0, v3, vcc
	v_mov_b32_e32 v2, s10
	s_add_u32 s10, s8, s22
	v_add_co_u32_e32 v112, vcc, s6, v0
	v_addc_co_u32_e32 v113, vcc, v2, v1, vcc
	s_addc_u32 s6, s9, s23
	v_mov_b32_e32 v2, s6
	v_add_co_u32_e32 v114, vcc, s10, v0
	s_lshl_b64 s[8:9], s[20:21], 4
	v_addc_co_u32_e32 v115, vcc, v2, v1, vcc
	v_mov_b32_e32 v3, s9
	v_add_co_u32_e32 v0, vcc, s8, v4
	v_addc_co_u32_e32 v1, vcc, v3, v5, vcc
	v_add_co_u32_e32 v116, vcc, 8, v0
	v_addc_co_u32_e32 v117, vcc, 0, v1, vcc
	;; [unrolled: 2-line block ×3, first 2 shown]
	v_mad_i64_i32 v[6:7], s[8:9], s20, 24, v[4:5]
	v_add_co_u32_e32 v121, vcc, 8, v6
	v_addc_co_u32_e32 v122, vcc, 0, v7, vcc
	v_mad_i64_i32 v[4:5], s[8:9], s20, 28, v[4:5]
	v_add_co_u32_e32 v123, vcc, 8, v4
	s_waitcnt vmcnt(3)
	v_and_b32_e32 v0, 0xff, v8
	v_bfe_u32 v1, v8, 8, 8
	v_bfe_u32 v2, v8, 16, 8
	v_lshrrev_b32_e32 v3, 24, v8
	v_addc_co_u32_e32 v124, vcc, 0, v5, vcc
	s_branch .LBB26_12
.LBB26_11:                              ;   in Loop: Header=BB26_12 Depth=1
	v_mov_b32_e32 v125, s13
	v_add_co_u32_e32 v4, vcc, s12, v107
	v_addc_co_u32_e32 v5, vcc, v125, v108, vcc
	global_load_dwordx4 v[32:35], v[4:5], off offset:-8
	v_add_co_u32_e32 v28, vcc, s12, v112
	v_addc_co_u32_e32 v29, vcc, v125, v113, vcc
	v_add_co_u32_e32 v36, vcc, s12, v114
	v_mov_b32_e32 v90, s2
	v_addc_co_u32_e32 v37, vcc, v125, v115, vcc
	ds_read_b128 v[16:19], v90
	ds_read_b128 v[4:7], v90 offset:16
	ds_read_b128 v[20:23], v90 offset:256
	;; [unrolled: 1-line block ×5, first 2 shown]
	global_load_dwordx4 v[28:31], v[28:29], off
	s_nop 0
	global_load_dwordx4 v[36:39], v[36:37], off
	v_add_u32_e32 v126, v1, v105
	v_add_u32_e32 v127, v0, v105
	;; [unrolled: 1-line block ×4, first 2 shown]
	s_waitcnt lgkmcnt(5)
	v_cvt_f32_f16_e32 v40, v16
	s_waitcnt lgkmcnt(3)
	v_cvt_f32_f16_e32 v42, v20
	;; [unrolled: 2-line block ×3, first 2 shown]
	v_cvt_f32_f16_sdwa v16, v16 dst_sel:DWORD dst_unused:UNUSED_PAD src0_sel:WORD_1
	v_cvt_f32_f16_sdwa v20, v20 dst_sel:DWORD dst_unused:UNUSED_PAD src0_sel:WORD_1
	;; [unrolled: 1-line block ×3, first 2 shown]
	v_cvt_f32_f16_e32 v50, v25
	v_cvt_f32_f16_e32 v48, v21
	v_cvt_f32_f16_e32 v46, v17
	s_add_i32 s24, s24, 32
	s_waitcnt vmcnt(2)
	v_sub_u32_sdwa v41, v33, v126 dst_sel:DWORD dst_unused:UNUSED_PAD src0_sel:BYTE_0 src1_sel:DWORD
	v_sub_u32_sdwa v43, v32, v127 dst_sel:DWORD dst_unused:UNUSED_PAD src0_sel:BYTE_0 src1_sel:DWORD
	;; [unrolled: 1-line block ×4, first 2 shown]
	v_sub_u32_sdwa v49, v33, v126 dst_sel:DWORD dst_unused:UNUSED_PAD src0_sel:BYTE_1 src1_sel:DWORD
	v_sub_u32_sdwa v51, v32, v127 dst_sel:DWORD dst_unused:UNUSED_PAD src0_sel:BYTE_1 src1_sel:DWORD
	;; [unrolled: 1-line block ×4, first 2 shown]
	v_cvt_f32_i32_e32 v41, v41
	v_cvt_f32_i32_e32 v43, v43
	;; [unrolled: 1-line block ×8, first 2 shown]
	v_sub_u32_sdwa v55, v32, v127 dst_sel:DWORD dst_unused:UNUSED_PAD src0_sel:BYTE_2 src1_sel:DWORD
	v_sub_u32_sdwa v56, v35, v102 dst_sel:DWORD dst_unused:UNUSED_PAD src0_sel:BYTE_2 src1_sel:DWORD
	;; [unrolled: 1-line block ×4, first 2 shown]
	v_cvt_f32_i32_e32 v55, v55
	v_cvt_f32_i32_e32 v56, v56
	;; [unrolled: 1-line block ×4, first 2 shown]
	v_cvt_f16_f32_e32 v41, v41
	v_cvt_f16_f32_e32 v43, v43
	;; [unrolled: 1-line block ×12, first 2 shown]
	v_cvt_f32_f16_e32 v53, v41
	v_cvt_f32_f16_e32 v52, v43
	;; [unrolled: 1-line block ×11, first 2 shown]
	v_pk_fma_f32 v[64:65], v[52:53], v[40:41], 0 op_sel_hi:[1,0,0]
	v_pk_fma_f32 v[66:67], v[52:53], v[42:43], 0 op_sel_hi:[1,0,0]
	;; [unrolled: 1-line block ×10, first 2 shown]
	v_sub_u32_sdwa v16, v33, v126 dst_sel:DWORD dst_unused:UNUSED_PAD src0_sel:BYTE_3 src1_sel:DWORD
	v_sub_u32_sdwa v20, v32, v127 dst_sel:DWORD dst_unused:UNUSED_PAD src0_sel:BYTE_3 src1_sel:DWORD
	v_pk_fma_f32 v[52:53], v[56:57], v[24:25], v[52:53] op_sel_hi:[1,0,1]
	v_pk_fma_f32 v[44:45], v[58:59], v[24:25], v[44:45] op_sel_hi:[1,0,1]
	v_cvt_f32_i32_e32 v16, v16
	v_cvt_f32_i32_e32 v20, v20
	v_sub_u32_sdwa v24, v35, v102 dst_sel:DWORD dst_unused:UNUSED_PAD src0_sel:BYTE_3 src1_sel:DWORD
	v_sub_u32_sdwa v34, v34, v68 dst_sel:DWORD dst_unused:UNUSED_PAD src0_sel:BYTE_3 src1_sel:DWORD
	v_pk_fma_f32 v[32:33], v[62:63], v[50:51], v[44:45] op_sel_hi:[1,0,1]
	v_cvt_f32_i32_e32 v24, v24
	v_cvt_f32_i32_e32 v44, v34
	v_cvt_f16_f32_e32 v16, v16
	v_cvt_f16_f32_e32 v20, v20
	;; [unrolled: 1-line block ×4, first 2 shown]
	v_cvt_f32_f16_e32 v61, v61
	v_cvt_f32_f16_e32 v35, v16
	v_cvt_f32_f16_e32 v34, v20
	v_cvt_f32_f16_sdwa v20, v21 dst_sel:DWORD dst_unused:UNUSED_PAD src0_sel:WORD_1
	v_cvt_f32_f16_sdwa v16, v17 dst_sel:DWORD dst_unused:UNUSED_PAD src0_sel:WORD_1
	v_cvt_f32_f16_e32 v45, v24
	v_cvt_f32_f16_e32 v44, v44
	v_pk_fma_f32 v[56:57], v[60:61], v[48:49], v[64:65] op_sel_hi:[1,0,1]
	v_pk_fma_f32 v[54:55], v[60:61], v[46:47], v[54:55] op_sel_hi:[1,0,1]
	;; [unrolled: 1-line block ×5, first 2 shown]
	s_waitcnt vmcnt(1)
	v_sub_u32_sdwa v21, v29, v126 dst_sel:DWORD dst_unused:UNUSED_PAD src0_sel:BYTE_0 src1_sel:DWORD
	v_cvt_f32_f16_sdwa v24, v25 dst_sel:DWORD dst_unused:UNUSED_PAD src0_sel:WORD_1
	v_pk_fma_f32 v[46:47], v[34:35], v[16:17], v[54:55] op_sel_hi:[1,0,1]
	v_pk_fma_f32 v[16:17], v[44:45], v[16:17], v[40:41] op_sel_hi:[1,0,1]
	v_cvt_f32_i32_e32 v40, v21
	v_sub_u32_sdwa v21, v28, v127 dst_sel:DWORD dst_unused:UNUSED_PAD src0_sel:BYTE_0 src1_sel:DWORD
	v_cvt_f32_i32_e32 v41, v21
	v_pk_fma_f32 v[52:53], v[60:61], v[50:51], v[52:53] op_sel_hi:[1,0,1]
	v_pk_fma_f32 v[34:35], v[34:35], v[24:25], v[52:53] op_sel_hi:[1,0,1]
	;; [unrolled: 1-line block ×3, first 2 shown]
	v_sub_u32_sdwa v33, v31, v102 dst_sel:DWORD dst_unused:UNUSED_PAD src0_sel:BYTE_0 src1_sel:DWORD
	v_cvt_f16_f32_e32 v32, v40
	v_cvt_f16_f32_e32 v40, v41
	v_cvt_f32_i32_e32 v41, v33
	v_sub_u32_sdwa v33, v30, v68 dst_sel:DWORD dst_unused:UNUSED_PAD src0_sel:BYTE_0 src1_sel:DWORD
	v_pk_fma_f32 v[20:21], v[44:45], v[20:21], v[42:43] op_sel_hi:[1,0,1]
	v_cvt_f32_i32_e32 v42, v33
	v_cvt_f16_f32_e32 v41, v41
	v_cvt_f32_f16_e32 v33, v32
	v_cvt_f32_f16_e32 v32, v40
	v_cvt_f16_f32_e32 v43, v42
	v_cvt_f32_f16_e32 v40, v22
	v_cvt_f32_f16_e32 v42, v26
	;; [unrolled: 1-line block ×5, first 2 shown]
	v_pk_fma_f32 v[72:73], v[32:33], v[40:41], v[48:49] op_sel_hi:[1,0,1]
	v_pk_fma_f32 v[74:75], v[32:33], v[42:43], v[34:35] op_sel_hi:[1,0,1]
	v_pk_fma_f32 v[76:77], v[32:33], v[50:51], v[46:47] op_sel_hi:[1,0,1]
	v_add_co_u32_e32 v32, vcc, s12, v110
	v_addc_co_u32_e32 v33, vcc, v125, v111, vcc
	v_pk_fma_f32 v[20:21], v[44:45], v[40:41], v[20:21] op_sel_hi:[1,0,1]
	v_pk_fma_f32 v[24:25], v[44:45], v[42:43], v[24:25] op_sel_hi:[1,0,1]
	global_load_dwordx4 v[40:43], v[32:33], off offset:-8
	s_waitcnt vmcnt(1)
	v_sub_u32_sdwa v32, v37, v126 dst_sel:DWORD dst_unused:UNUSED_PAD src0_sel:BYTE_0 src1_sel:DWORD
	v_sub_u32_sdwa v33, v36, v127 dst_sel:DWORD dst_unused:UNUSED_PAD src0_sel:BYTE_0 src1_sel:DWORD
	v_cvt_f32_i32_e32 v32, v32
	v_cvt_f32_i32_e32 v33, v33
	v_sub_u32_sdwa v34, v37, v126 dst_sel:DWORD dst_unused:UNUSED_PAD src0_sel:BYTE_1 src1_sel:DWORD
	v_sub_u32_sdwa v35, v36, v127 dst_sel:DWORD dst_unused:UNUSED_PAD src0_sel:BYTE_1 src1_sel:DWORD
	v_cvt_f32_i32_e32 v34, v34
	v_cvt_f32_i32_e32 v35, v35
	v_cvt_f16_f32_e32 v32, v32
	v_cvt_f16_f32_e32 v33, v33
	;; [unrolled: 1-line block ×4, first 2 shown]
	v_pk_fma_f32 v[16:17], v[44:45], v[50:51], v[16:17] op_sel_hi:[1,0,1]
	v_cvt_f32_f16_e32 v45, v32
	v_cvt_f32_f16_e32 v44, v33
	v_cvt_f32_f16_e32 v48, v4
	v_cvt_f32_f16_e32 v47, v34
	v_cvt_f32_f16_e32 v46, v35
	v_cvt_f32_f16_sdwa v4, v4 dst_sel:DWORD dst_unused:UNUSED_PAD src0_sel:WORD_1
	v_cvt_f32_f16_e32 v50, v8
	v_cvt_f32_f16_sdwa v8, v8 dst_sel:DWORD dst_unused:UNUSED_PAD src0_sel:WORD_1
	v_pk_fma_f32 v[32:33], v[44:45], v[48:49], 0 op_sel_hi:[1,0,0]
	v_pk_fma_f32 v[52:53], v[46:47], v[4:5], v[32:33] op_sel_hi:[1,0,1]
	;; [unrolled: 1-line block ×4, first 2 shown]
	v_add_co_u32_e32 v32, vcc, s12, v116
	v_addc_co_u32_e32 v33, vcc, v125, v117, vcc
	global_load_dwordx4 v[32:35], v[32:33], off offset:-8
	v_sub_u32_sdwa v49, v39, v102 dst_sel:DWORD dst_unused:UNUSED_PAD src0_sel:BYTE_0 src1_sel:DWORD
	v_sub_u32_sdwa v51, v38, v68 dst_sel:DWORD dst_unused:UNUSED_PAD src0_sel:BYTE_0 src1_sel:DWORD
	v_cvt_f32_i32_e32 v49, v49
	v_cvt_f32_i32_e32 v51, v51
	v_sub_u32_sdwa v57, v39, v102 dst_sel:DWORD dst_unused:UNUSED_PAD src0_sel:BYTE_1 src1_sel:DWORD
	v_sub_u32_sdwa v58, v38, v68 dst_sel:DWORD dst_unused:UNUSED_PAD src0_sel:BYTE_1 src1_sel:DWORD
	v_cvt_f32_i32_e32 v57, v57
	v_cvt_f32_i32_e32 v58, v58
	v_cvt_f16_f32_e32 v49, v49
	v_cvt_f16_f32_e32 v51, v51
	;; [unrolled: 1-line block ×4, first 2 shown]
	s_waitcnt lgkmcnt(0)
	v_cvt_f32_f16_e32 v56, v12
	v_cvt_f32_f16_sdwa v12, v12 dst_sel:DWORD dst_unused:UNUSED_PAD src0_sel:WORD_1
	v_cvt_f32_f16_e32 v59, v49
	v_cvt_f32_f16_e32 v58, v51
	v_cvt_f32_f16_e32 v61, v57
	v_cvt_f32_f16_e32 v60, v60
	v_pk_fma_f32 v[44:45], v[44:45], v[56:57], 0 op_sel_hi:[1,0,0]
	v_pk_fma_f32 v[44:45], v[46:47], v[12:13], v[44:45] op_sel_hi:[1,0,1]
	;; [unrolled: 1-line block ×4, first 2 shown]
	v_sub_u32_sdwa v4, v37, v126 dst_sel:DWORD dst_unused:UNUSED_PAD src0_sel:BYTE_2 src1_sel:DWORD
	v_cvt_f32_i32_e32 v4, v4
	v_pk_fma_f32 v[48:49], v[58:59], v[50:51], 0 op_sel_hi:[1,0,0]
	v_pk_fma_f32 v[50:51], v[58:59], v[56:57], 0 op_sel_hi:[1,0,0]
	;; [unrolled: 1-line block ×3, first 2 shown]
	v_cvt_f16_f32_e32 v4, v4
	v_sub_u32_sdwa v8, v36, v127 dst_sel:DWORD dst_unused:UNUSED_PAD src0_sel:BYTE_2 src1_sel:DWORD
	v_pk_fma_f32 v[50:51], v[60:61], v[12:13], v[50:51] op_sel_hi:[1,0,1]
	v_cvt_f32_i32_e32 v8, v8
	v_cvt_f32_f16_e32 v57, v4
	v_sub_u32_sdwa v4, v39, v102 dst_sel:DWORD dst_unused:UNUSED_PAD src0_sel:BYTE_2 src1_sel:DWORD
	v_cvt_f32_i32_e32 v12, v4
	v_sub_u32_sdwa v4, v38, v68 dst_sel:DWORD dst_unused:UNUSED_PAD src0_sel:BYTE_2 src1_sel:DWORD
	v_cvt_f32_i32_e32 v58, v4
	v_cvt_f16_f32_e32 v8, v8
	v_cvt_f16_f32_e32 v59, v12
	v_cvt_f32_f16_e32 v4, v5
	v_cvt_f16_f32_e32 v58, v58
	v_cvt_f32_f16_e32 v56, v8
	v_cvt_f32_f16_e32 v59, v59
	v_cvt_f32_f16_e32 v8, v9
	v_cvt_f32_f16_e32 v58, v58
	v_pk_fma_f32 v[52:53], v[56:57], v[4:5], v[52:53] op_sel_hi:[1,0,1]
	v_cvt_f32_f16_e32 v12, v13
	v_pk_fma_f32 v[54:55], v[56:57], v[8:9], v[54:55] op_sel_hi:[1,0,1]
	v_pk_fma_f32 v[46:47], v[58:59], v[4:5], v[46:47] op_sel_hi:[1,0,1]
	v_sub_u32_sdwa v4, v37, v126 dst_sel:DWORD dst_unused:UNUSED_PAD src0_sel:BYTE_3 src1_sel:DWORD
	v_cvt_f32_i32_e32 v4, v4
	v_pk_fma_f32 v[48:49], v[58:59], v[8:9], v[48:49] op_sel_hi:[1,0,1]
	v_sub_u32_sdwa v8, v36, v127 dst_sel:DWORD dst_unused:UNUSED_PAD src0_sel:BYTE_3 src1_sel:DWORD
	v_cvt_f32_i32_e32 v8, v8
	v_cvt_f16_f32_e32 v4, v4
	v_pk_fma_f32 v[56:57], v[56:57], v[12:13], v[44:45] op_sel_hi:[1,0,1]
	v_pk_fma_f32 v[44:45], v[58:59], v[12:13], v[50:51] op_sel_hi:[1,0,1]
	v_sub_u32_sdwa v12, v39, v102 dst_sel:DWORD dst_unused:UNUSED_PAD src0_sel:BYTE_3 src1_sel:DWORD
	v_sub_u32_sdwa v36, v38, v68 dst_sel:DWORD dst_unused:UNUSED_PAD src0_sel:BYTE_3 src1_sel:DWORD
	v_cvt_f16_f32_e32 v8, v8
	v_cvt_f32_f16_e32 v37, v4
	v_cvt_f32_i32_e32 v4, v12
	v_cvt_f32_i32_e32 v38, v36
	v_cvt_f32_f16_e32 v36, v8
	v_cvt_f32_f16_sdwa v12, v9 dst_sel:DWORD dst_unused:UNUSED_PAD src0_sel:WORD_1
	v_cvt_f16_f32_e32 v8, v4
	v_cvt_f16_f32_e32 v39, v38
	v_cvt_f32_f16_sdwa v4, v13 dst_sel:DWORD dst_unused:UNUSED_PAD src0_sel:WORD_1
	v_cvt_f32_f16_sdwa v38, v5 dst_sel:DWORD dst_unused:UNUSED_PAD src0_sel:WORD_1
	v_cvt_f32_f16_e32 v9, v8
	v_cvt_f32_f16_e32 v8, v39
	v_pk_fma_f32 v[82:83], v[36:37], v[12:13], v[54:55] op_sel_hi:[1,0,1]
	v_pk_fma_f32 v[84:85], v[36:37], v[4:5], v[56:57] op_sel_hi:[1,0,1]
	v_pk_fma_f32 v[86:87], v[36:37], v[38:39], v[52:53] op_sel_hi:[1,0,1]
	v_pk_fma_f32 v[80:81], v[8:9], v[12:13], v[48:49] op_sel_hi:[1,0,1]
	v_add_co_u32_e32 v12, vcc, s12, v119
	v_addc_co_u32_e32 v13, vcc, v125, v120, vcc
	global_load_dwordx4 v[52:55], v[12:13], off offset:-8
	s_waitcnt vmcnt(1)
	v_sub_u32_sdwa v5, v33, v126 dst_sel:DWORD dst_unused:UNUSED_PAD src0_sel:BYTE_0 src1_sel:DWORD
	v_cvt_f32_i32_e32 v5, v5
	v_pk_fma_f32 v[78:79], v[8:9], v[38:39], v[46:47] op_sel_hi:[1,0,1]
	ds_read_b128 v[56:59], v90 offset:32
	v_cvt_f32_f16_sdwa v22, v22 dst_sel:DWORD dst_unused:UNUSED_PAD src0_sel:WORD_1
	v_pk_fma_f32 v[88:89], v[8:9], v[4:5], v[44:45] op_sel_hi:[1,0,1]
	ds_read_b128 v[44:47], v90 offset:48
	v_sub_u32_sdwa v4, v32, v127 dst_sel:DWORD dst_unused:UNUSED_PAD src0_sel:BYTE_0 src1_sel:DWORD
	v_sub_u32_sdwa v8, v33, v126 dst_sel:DWORD dst_unused:UNUSED_PAD src0_sel:BYTE_1 src1_sel:DWORD
	v_sub_u32_sdwa v9, v32, v127 dst_sel:DWORD dst_unused:UNUSED_PAD src0_sel:BYTE_1 src1_sel:DWORD
	v_cvt_f32_i32_e32 v4, v4
	v_cvt_f32_i32_e32 v8, v8
	v_cvt_f32_i32_e32 v9, v9
	v_cvt_f16_f32_e32 v5, v5
	v_cvt_f16_f32_e32 v4, v4
	v_cvt_f16_f32_e32 v8, v8
	v_cvt_f16_f32_e32 v12, v9
	ds_read_b128 v[60:63], v90 offset:288
	ds_read_b128 v[48:51], v90 offset:304
	v_cvt_f32_f16_e32 v5, v5
	v_cvt_f32_f16_e32 v4, v4
	;; [unrolled: 1-line block ×4, first 2 shown]
	s_waitcnt lgkmcnt(3)
	v_cvt_f32_f16_e32 v12, v56
	v_cvt_f32_f16_sdwa v56, v56 dst_sel:DWORD dst_unused:UNUSED_PAD src0_sel:WORD_1
	s_waitcnt lgkmcnt(1)
	v_cvt_f32_f16_e32 v94, v60
	v_cvt_f32_f16_sdwa v60, v60 dst_sel:DWORD dst_unused:UNUSED_PAD src0_sel:WORD_1
	v_pk_fma_f32 v[36:37], v[4:5], v[12:13], 0 op_sel_hi:[1,0,0]
	v_pk_fma_f32 v[92:93], v[8:9], v[56:57], v[36:37] op_sel_hi:[1,0,1]
	;; [unrolled: 1-line block ×4, first 2 shown]
	ds_read_b128 v[64:67], v90 offset:544
	ds_read_b128 v[36:39], v90 offset:560
	s_waitcnt lgkmcnt(1)
	v_cvt_f32_f16_e32 v90, v64
	v_cvt_f32_f16_sdwa v64, v64 dst_sel:DWORD dst_unused:UNUSED_PAD src0_sel:WORD_1
	v_pk_fma_f32 v[4:5], v[4:5], v[90:91], 0 op_sel_hi:[1,0,0]
	v_pk_fma_f32 v[4:5], v[8:9], v[64:65], v[4:5] op_sel_hi:[1,0,1]
	v_sub_u32_sdwa v8, v35, v102 dst_sel:DWORD dst_unused:UNUSED_PAD src0_sel:BYTE_0 src1_sel:DWORD
	v_sub_u32_sdwa v9, v34, v68 dst_sel:DWORD dst_unused:UNUSED_PAD src0_sel:BYTE_0 src1_sel:DWORD
	v_cvt_f32_i32_e32 v8, v8
	v_cvt_f32_i32_e32 v9, v9
	v_sub_u32_sdwa v91, v34, v68 dst_sel:DWORD dst_unused:UNUSED_PAD src0_sel:BYTE_1 src1_sel:DWORD
	v_cvt_f32_i32_e32 v91, v91
	v_cvt_f16_f32_e32 v8, v8
	v_cvt_f16_f32_e32 v13, v9
	;; [unrolled: 1-line block ×3, first 2 shown]
	v_cvt_f32_f16_e32 v9, v8
	v_cvt_f32_f16_e32 v8, v13
	v_sub_u32_sdwa v13, v35, v102 dst_sel:DWORD dst_unused:UNUSED_PAD src0_sel:BYTE_1 src1_sel:DWORD
	v_cvt_f32_i32_e32 v13, v13
	v_cvt_f32_f16_e32 v98, v91
	v_pk_fma_f32 v[94:95], v[8:9], v[94:95], 0 op_sel_hi:[1,0,0]
	v_cvt_f16_f32_e32 v13, v13
	v_cvt_f32_f16_e32 v99, v13
	v_pk_fma_f32 v[12:13], v[8:9], v[12:13], 0 op_sel_hi:[1,0,0]
	v_pk_fma_f32 v[8:9], v[8:9], v[90:91], 0 op_sel_hi:[1,0,0]
	;; [unrolled: 1-line block ×4, first 2 shown]
	v_sub_u32_sdwa v56, v33, v126 dst_sel:DWORD dst_unused:UNUSED_PAD src0_sel:BYTE_2 src1_sel:DWORD
	v_sub_u32_sdwa v60, v32, v127 dst_sel:DWORD dst_unused:UNUSED_PAD src0_sel:BYTE_2 src1_sel:DWORD
	v_cvt_f32_i32_e32 v56, v56
	v_cvt_f32_i32_e32 v60, v60
	v_pk_fma_f32 v[8:9], v[98:99], v[64:65], v[8:9] op_sel_hi:[1,0,1]
	v_sub_u32_sdwa v64, v34, v68 dst_sel:DWORD dst_unused:UNUSED_PAD src0_sel:BYTE_2 src1_sel:DWORD
	v_cvt_f16_f32_e32 v56, v56
	v_cvt_f16_f32_e32 v60, v60
	v_cvt_f32_i32_e32 v64, v64
	v_cvt_f32_f16_e32 v99, v56
	v_cvt_f32_f16_e32 v98, v60
	;; [unrolled: 1-line block ×4, first 2 shown]
	v_cvt_f16_f32_e32 v64, v64
	v_pk_fma_f32 v[90:91], v[98:99], v[56:57], v[96:97] op_sel_hi:[1,0,1]
	v_pk_fma_f32 v[96:97], v[98:99], v[60:61], v[4:5] op_sel_hi:[1,0,1]
	v_cvt_f32_f16_e32 v4, v57
	v_pk_fma_f32 v[100:101], v[98:99], v[4:5], v[92:93] op_sel_hi:[1,0,1]
	v_sub_u32_sdwa v5, v35, v102 dst_sel:DWORD dst_unused:UNUSED_PAD src0_sel:BYTE_2 src1_sel:DWORD
	v_cvt_f32_i32_e32 v5, v5
	v_cvt_f32_f16_e32 v98, v64
	s_waitcnt vmcnt(0)
	v_sub_u32_sdwa v64, v54, v68 dst_sel:DWORD dst_unused:UNUSED_PAD src0_sel:BYTE_0 src1_sel:DWORD
	v_cvt_f16_f32_e32 v5, v5
	v_cvt_f32_f16_e32 v99, v5
	v_pk_fma_f32 v[92:93], v[98:99], v[4:5], v[12:13] op_sel_hi:[1,0,1]
	v_sub_u32_sdwa v4, v29, v126 dst_sel:DWORD dst_unused:UNUSED_PAD src0_sel:BYTE_1 src1_sel:DWORD
	v_sub_u32_sdwa v5, v28, v127 dst_sel:DWORD dst_unused:UNUSED_PAD src0_sel:BYTE_1 src1_sel:DWORD
	v_cvt_f32_i32_e32 v4, v4
	v_cvt_f32_i32_e32 v5, v5
	v_pk_fma_f32 v[94:95], v[98:99], v[56:57], v[94:95] op_sel_hi:[1,0,1]
	v_pk_fma_f32 v[98:99], v[98:99], v[60:61], v[8:9] op_sel_hi:[1,0,1]
	v_cvt_f16_f32_e32 v4, v4
	v_cvt_f16_f32_e32 v8, v5
	v_sub_u32_sdwa v60, v40, v127 dst_sel:DWORD dst_unused:UNUSED_PAD src0_sel:BYTE_1 src1_sel:DWORD
	v_cvt_f32_i32_e32 v60, v60
	v_cvt_f32_f16_e32 v5, v4
	v_cvt_f32_f16_e32 v4, v8
	v_cvt_f32_f16_sdwa v8, v18 dst_sel:DWORD dst_unused:UNUSED_PAD src0_sel:WORD_1
	v_cvt_f32_f16_sdwa v18, v26 dst_sel:DWORD dst_unused:UNUSED_PAD src0_sel:WORD_1
	v_sub_u32_sdwa v26, v31, v102 dst_sel:DWORD dst_unused:UNUSED_PAD src0_sel:BYTE_1 src1_sel:DWORD
	v_cvt_f32_i32_e32 v26, v26
	v_pk_fma_f32 v[12:13], v[4:5], v[8:9], v[76:77] op_sel_hi:[1,0,1]
	v_sub_u32_sdwa v9, v30, v68 dst_sel:DWORD dst_unused:UNUSED_PAD src0_sel:BYTE_1 src1_sel:DWORD
	v_cvt_f32_i32_e32 v9, v9
	v_cvt_f16_f32_e32 v26, v26
	v_pk_fma_f32 v[74:75], v[4:5], v[18:19], v[74:75] op_sel_hi:[1,0,1]
	v_pk_fma_f32 v[4:5], v[4:5], v[22:23], v[72:73] op_sel_hi:[1,0,1]
	v_cvt_f16_f32_e32 v9, v9
	v_cvt_f32_f16_e32 v73, v26
	v_cvt_f32_f16_e32 v26, v23
	v_cvt_f16_f32_e32 v60, v60
	v_cvt_f32_f16_e32 v72, v9
	v_pk_fma_f32 v[24:25], v[72:73], v[18:19], v[24:25] op_sel_hi:[1,0,1]
	v_pk_fma_f32 v[8:9], v[72:73], v[8:9], v[16:17] op_sel_hi:[1,0,1]
	;; [unrolled: 1-line block ×3, first 2 shown]
	v_sub_u32_sdwa v18, v29, v126 dst_sel:DWORD dst_unused:UNUSED_PAD src0_sel:BYTE_2 src1_sel:DWORD
	v_sub_u32_sdwa v20, v28, v127 dst_sel:DWORD dst_unused:UNUSED_PAD src0_sel:BYTE_2 src1_sel:DWORD
	v_cvt_f32_i32_e32 v18, v18
	v_cvt_f32_i32_e32 v20, v20
	v_cvt_f32_f16_e32 v22, v27
	v_cvt_f16_f32_e32 v18, v18
	v_cvt_f16_f32_e32 v20, v20
	v_cvt_f32_f16_e32 v21, v18
	v_cvt_f32_f16_e32 v20, v20
	;; [unrolled: 1-line block ×3, first 2 shown]
	v_pk_fma_f32 v[72:73], v[20:21], v[22:23], v[74:75] op_sel_hi:[1,0,1]
	v_pk_fma_f32 v[12:13], v[20:21], v[18:19], v[12:13] op_sel_hi:[1,0,1]
	;; [unrolled: 1-line block ×3, first 2 shown]
	v_sub_u32_sdwa v20, v31, v102 dst_sel:DWORD dst_unused:UNUSED_PAD src0_sel:BYTE_2 src1_sel:DWORD
	v_sub_u32_sdwa v21, v30, v68 dst_sel:DWORD dst_unused:UNUSED_PAD src0_sel:BYTE_2 src1_sel:DWORD
	v_cvt_f32_i32_e32 v20, v20
	v_cvt_f32_i32_e32 v21, v21
	v_cvt_f16_f32_e32 v20, v20
	v_cvt_f16_f32_e32 v56, v21
	v_cvt_f32_f16_e32 v21, v20
	v_cvt_f32_f16_e32 v20, v56
	;; [unrolled: 1-line block ×3, first 2 shown]
	v_cvt_f32_f16_sdwa v10, v10 dst_sel:DWORD dst_unused:UNUSED_PAD src0_sel:WORD_1
	v_pk_fma_f32 v[74:75], v[20:21], v[26:27], v[16:17] op_sel_hi:[1,0,1]
	v_sub_u32_sdwa v16, v28, v127 dst_sel:DWORD dst_unused:UNUSED_PAD src0_sel:BYTE_3 src1_sel:DWORD
	v_sub_u32_sdwa v17, v29, v126 dst_sel:DWORD dst_unused:UNUSED_PAD src0_sel:BYTE_3 src1_sel:DWORD
	v_cvt_f32_i32_e32 v17, v17
	v_cvt_f32_i32_e32 v16, v16
	v_pk_fma_f32 v[24:25], v[20:21], v[22:23], v[24:25] op_sel_hi:[1,0,1]
	v_cvt_f32_f16_sdwa v22, v19 dst_sel:DWORD dst_unused:UNUSED_PAD src0_sel:WORD_1
	v_cvt_f16_f32_e32 v17, v17
	v_cvt_f16_f32_e32 v16, v16
	v_cvt_f32_f16_sdwa v26, v23 dst_sel:DWORD dst_unused:UNUSED_PAD src0_sel:WORD_1
	v_cvt_f32_f16_sdwa v28, v27 dst_sel:DWORD dst_unused:UNUSED_PAD src0_sel:WORD_1
	v_cvt_f32_f16_e32 v17, v17
	v_cvt_f32_f16_e32 v16, v16
	v_sub_u32_sdwa v29, v30, v68 dst_sel:DWORD dst_unused:UNUSED_PAD src0_sel:BYTE_3 src1_sel:DWORD
	v_sub_u32_sdwa v30, v31, v102 dst_sel:DWORD dst_unused:UNUSED_PAD src0_sel:BYTE_3 src1_sel:DWORD
	v_pk_fma_f32 v[8:9], v[20:21], v[18:19], v[8:9] op_sel_hi:[1,0,1]
	v_pk_fma_f32 v[18:19], v[16:17], v[22:23], v[12:13] op_sel_hi:[1,0,1]
	;; [unrolled: 1-line block ×4, first 2 shown]
	v_cvt_f32_i32_e32 v4, v30
	v_cvt_f32_i32_e32 v5, v29
	v_cvt_f16_f32_e32 v4, v4
	v_cvt_f16_f32_e32 v12, v5
	v_cvt_f32_f16_e32 v5, v4
	v_cvt_f32_f16_e32 v4, v12
	v_pk_fma_f32 v[8:9], v[4:5], v[22:23], v[8:9] op_sel_hi:[1,0,1]
	v_sub_u32_sdwa v22, v41, v126 dst_sel:DWORD dst_unused:UNUSED_PAD src0_sel:BYTE_0 src1_sel:DWORD
	v_sub_u32_sdwa v23, v40, v127 dst_sel:DWORD dst_unused:UNUSED_PAD src0_sel:BYTE_0 src1_sel:DWORD
	v_cvt_f32_i32_e32 v22, v22
	v_cvt_f32_i32_e32 v23, v23
	v_pk_fma_f32 v[12:13], v[4:5], v[28:29], v[24:25] op_sel_hi:[1,0,1]
	v_cvt_f32_f16_e32 v28, v14
	v_cvt_f16_f32_e32 v22, v22
	v_cvt_f16_f32_e32 v24, v23
	v_pk_fma_f32 v[4:5], v[4:5], v[26:27], v[74:75] op_sel_hi:[1,0,1]
	v_cvt_f32_f16_e32 v74, v60
	v_cvt_f32_f16_e32 v23, v22
	;; [unrolled: 1-line block ×4, first 2 shown]
	v_sub_u32_sdwa v60, v42, v68 dst_sel:DWORD dst_unused:UNUSED_PAD src0_sel:BYTE_1 src1_sel:DWORD
	v_cvt_f32_i32_e32 v60, v60
	v_pk_fma_f32 v[30:31], v[22:23], v[28:29], v[84:85] op_sel_hi:[1,0,1]
	v_pk_fma_f32 v[26:27], v[22:23], v[24:25], v[86:87] op_sel_hi:[1,0,1]
	v_sub_u32_sdwa v25, v42, v68 dst_sel:DWORD dst_unused:UNUSED_PAD src0_sel:BYTE_0 src1_sel:DWORD
	v_sub_u32_sdwa v29, v43, v102 dst_sel:DWORD dst_unused:UNUSED_PAD src0_sel:BYTE_0 src1_sel:DWORD
	v_cvt_f32_i32_e32 v25, v25
	v_cvt_f32_i32_e32 v29, v29
	v_pk_fma_f32 v[22:23], v[22:23], v[56:57], v[82:83] op_sel_hi:[1,0,1]
	v_cvt_f32_f16_sdwa v6, v6 dst_sel:DWORD dst_unused:UNUSED_PAD src0_sel:WORD_1
	v_cvt_f16_f32_e32 v25, v25
	v_cvt_f16_f32_e32 v29, v29
	v_cvt_f32_f16_sdwa v14, v14 dst_sel:DWORD dst_unused:UNUSED_PAD src0_sel:WORD_1
	v_cvt_f16_f32_e32 v60, v60
	v_cvt_f32_f16_e32 v72, v25
	v_cvt_f32_f16_e32 v73, v29
	v_pk_fma_f32 v[28:29], v[72:73], v[28:29], v[88:89] op_sel_hi:[1,0,1]
	v_pk_fma_f32 v[24:25], v[72:73], v[24:25], v[78:79] op_sel_hi:[1,0,1]
	;; [unrolled: 1-line block ×3, first 2 shown]
	v_sub_u32_sdwa v56, v41, v126 dst_sel:DWORD dst_unused:UNUSED_PAD src0_sel:BYTE_1 src1_sel:DWORD
	v_cvt_f32_i32_e32 v56, v56
	v_cvt_f16_f32_e32 v56, v56
	v_cvt_f32_f16_e32 v75, v56
	v_sub_u32_sdwa v56, v43, v102 dst_sel:DWORD dst_unused:UNUSED_PAD src0_sel:BYTE_1 src1_sel:DWORD
	v_cvt_f32_i32_e32 v56, v56
	v_pk_fma_f32 v[26:27], v[74:75], v[6:7], v[26:27] op_sel_hi:[1,0,1]
	v_pk_fma_f32 v[30:31], v[74:75], v[14:15], v[30:31] op_sel_hi:[1,0,1]
	v_cvt_f16_f32_e32 v56, v56
	v_pk_fma_f32 v[22:23], v[74:75], v[10:11], v[22:23] op_sel_hi:[1,0,1]
	v_cvt_f32_f16_e32 v74, v60
	v_sub_u32_sdwa v60, v42, v68 dst_sel:DWORD dst_unused:UNUSED_PAD src0_sel:BYTE_2 src1_sel:DWORD
	v_cvt_f32_f16_e32 v75, v56
	v_sub_u32_sdwa v56, v43, v102 dst_sel:DWORD dst_unused:UNUSED_PAD src0_sel:BYTE_2 src1_sel:DWORD
	v_cvt_f32_i32_e32 v56, v56
	v_cvt_f32_i32_e32 v60, v60
	v_pk_fma_f32 v[24:25], v[74:75], v[6:7], v[24:25] op_sel_hi:[1,0,1]
	v_pk_fma_f32 v[72:73], v[74:75], v[10:11], v[72:73] op_sel_hi:[1,0,1]
	v_sub_u32_sdwa v6, v41, v126 dst_sel:DWORD dst_unused:UNUSED_PAD src0_sel:BYTE_2 src1_sel:DWORD
	v_sub_u32_sdwa v10, v40, v127 dst_sel:DWORD dst_unused:UNUSED_PAD src0_sel:BYTE_2 src1_sel:DWORD
	v_cvt_f32_i32_e32 v6, v6
	v_cvt_f32_i32_e32 v10, v10
	v_pk_fma_f32 v[28:29], v[74:75], v[14:15], v[28:29] op_sel_hi:[1,0,1]
	v_cvt_f32_f16_e32 v14, v11
	v_cvt_f16_f32_e32 v6, v6
	v_cvt_f16_f32_e32 v10, v10
	v_cvt_f16_f32_e32 v56, v56
	v_cvt_f16_f32_e32 v60, v60
	v_cvt_f32_f16_e32 v75, v6
	v_cvt_f32_f16_e32 v74, v10
	;; [unrolled: 1-line block ×4, first 2 shown]
	v_pk_fma_f32 v[22:23], v[74:75], v[14:15], v[22:23] op_sel_hi:[1,0,1]
	v_pk_fma_f32 v[26:27], v[74:75], v[6:7], v[26:27] op_sel_hi:[1,0,1]
	;; [unrolled: 1-line block ×3, first 2 shown]
	v_cvt_f32_f16_e32 v75, v56
	v_cvt_f32_f16_e32 v74, v60
	v_pk_fma_f32 v[76:77], v[74:75], v[10:11], v[28:29] op_sel_hi:[1,0,1]
	v_pk_fma_f32 v[72:73], v[74:75], v[14:15], v[72:73] op_sel_hi:[1,0,1]
	v_sub_u32_sdwa v14, v41, v126 dst_sel:DWORD dst_unused:UNUSED_PAD src0_sel:BYTE_3 src1_sel:DWORD
	v_sub_u32_sdwa v28, v40, v127 dst_sel:DWORD dst_unused:UNUSED_PAD src0_sel:BYTE_3 src1_sel:DWORD
	v_pk_fma_f32 v[24:25], v[74:75], v[6:7], v[24:25] op_sel_hi:[1,0,1]
	v_cvt_f32_f16_sdwa v6, v7 dst_sel:DWORD dst_unused:UNUSED_PAD src0_sel:WORD_1
	v_cvt_f32_f16_sdwa v40, v11 dst_sel:DWORD dst_unused:UNUSED_PAD src0_sel:WORD_1
	v_cvt_f32_i32_e32 v7, v14
	v_cvt_f32_i32_e32 v11, v28
	v_sub_u32_sdwa v29, v43, v102 dst_sel:DWORD dst_unused:UNUSED_PAD src0_sel:BYTE_3 src1_sel:DWORD
	v_sub_u32_sdwa v41, v42, v68 dst_sel:DWORD dst_unused:UNUSED_PAD src0_sel:BYTE_3 src1_sel:DWORD
	v_cvt_f16_f32_e32 v7, v7
	v_cvt_f16_f32_e32 v11, v11
	v_cvt_f32_f16_sdwa v10, v15 dst_sel:DWORD dst_unused:UNUSED_PAD src0_sel:WORD_1
	v_cvt_f32_f16_e32 v15, v7
	v_cvt_f32_f16_e32 v14, v11
	v_cvt_f32_i32_e32 v7, v29
	v_cvt_f32_i32_e32 v11, v41
	v_pk_fma_f32 v[22:23], v[14:15], v[40:41], v[22:23] op_sel_hi:[1,0,1]
	v_cvt_f16_f32_e32 v7, v7
	v_cvt_f16_f32_e32 v11, v11
	v_cvt_f32_f16_e32 v43, v7
	v_cvt_f32_f16_e32 v42, v11
	v_pk_fma_f32 v[26:27], v[14:15], v[6:7], v[26:27] op_sel_hi:[1,0,1]
	v_pk_fma_f32 v[28:29], v[14:15], v[10:11], v[30:31] op_sel_hi:[1,0,1]
	v_sub_u32_sdwa v7, v32, v127 dst_sel:DWORD dst_unused:UNUSED_PAD src0_sel:BYTE_3 src1_sel:DWORD
	v_pk_fma_f32 v[14:15], v[42:43], v[10:11], v[76:77] op_sel_hi:[1,0,1]
	v_sub_u32_sdwa v10, v33, v126 dst_sel:DWORD dst_unused:UNUSED_PAD src0_sel:BYTE_3 src1_sel:DWORD
	v_cvt_f32_i32_e32 v30, v10
	v_cvt_f32_i32_e32 v31, v7
	v_pk_fma_f32 v[10:11], v[42:43], v[6:7], v[24:25] op_sel_hi:[1,0,1]
	v_sub_u32_sdwa v32, v35, v102 dst_sel:DWORD dst_unused:UNUSED_PAD src0_sel:BYTE_3 src1_sel:DWORD
	v_cvt_f16_f32_e32 v24, v30
	v_cvt_f16_f32_e32 v30, v31
	v_sub_u32_sdwa v31, v34, v68 dst_sel:DWORD dst_unused:UNUSED_PAD src0_sel:BYTE_3 src1_sel:DWORD
	v_cvt_f32_i32_e32 v33, v32
	v_cvt_f32_f16_e32 v25, v24
	v_cvt_f32_f16_e32 v24, v30
	v_cvt_f32_f16_sdwa v30, v57 dst_sel:DWORD dst_unused:UNUSED_PAD src0_sel:WORD_1
	v_cvt_f32_i32_e32 v31, v31
	v_cvt_f32_f16_sdwa v32, v65 dst_sel:DWORD dst_unused:UNUSED_PAD src0_sel:WORD_1
	v_cvt_f16_f32_e32 v33, v33
	v_pk_fma_f32 v[6:7], v[42:43], v[40:41], v[72:73] op_sel_hi:[1,0,1]
	v_pk_fma_f32 v[34:35], v[24:25], v[30:31], v[100:101] op_sel_hi:[1,0,1]
	v_cvt_f16_f32_e32 v31, v31
	v_pk_fma_f32 v[40:41], v[24:25], v[32:33], v[96:97] op_sel_hi:[1,0,1]
	v_cvt_f32_f16_e32 v57, v33
	v_sub_u32_sdwa v33, v52, v127 dst_sel:DWORD dst_unused:UNUSED_PAD src0_sel:BYTE_0 src1_sel:DWORD
	v_cvt_f32_f16_e32 v56, v31
	v_sub_u32_sdwa v31, v53, v126 dst_sel:DWORD dst_unused:UNUSED_PAD src0_sel:BYTE_0 src1_sel:DWORD
	v_cvt_f32_i32_e32 v43, v33
	v_cvt_f32_i32_e32 v31, v31
	v_cvt_f32_f16_sdwa v42, v61 dst_sel:DWORD dst_unused:UNUSED_PAD src0_sel:WORD_1
	v_pk_fma_f32 v[32:33], v[56:57], v[32:33], v[98:99] op_sel_hi:[1,0,1]
	v_cvt_f16_f32_e32 v61, v43
	v_cvt_f16_f32_e32 v60, v31
	v_pk_fma_f32 v[24:25], v[24:25], v[42:43], v[90:91] op_sel_hi:[1,0,1]
	v_pk_fma_f32 v[30:31], v[56:57], v[30:31], v[92:93] op_sel_hi:[1,0,1]
	v_pk_fma_f32 v[42:43], v[56:57], v[42:43], v[94:95] op_sel_hi:[1,0,1]
	v_cvt_f32_f16_e32 v56, v61
	v_sub_u32_sdwa v61, v55, v102 dst_sel:DWORD dst_unused:UNUSED_PAD src0_sel:BYTE_0 src1_sel:DWORD
	v_cvt_f32_f16_e32 v57, v60
	v_cvt_f32_f16_e32 v60, v58
	v_cvt_f32_i32_e32 v61, v61
	v_cvt_f32_i32_e32 v65, v64
	v_cvt_f32_f16_e32 v64, v66
	v_cvt_f32_f16_e32 v72, v62
	v_pk_fma_f32 v[34:35], v[56:57], v[60:61], v[34:35] op_sel_hi:[1,0,1]
	v_cvt_f16_f32_e32 v61, v61
	v_cvt_f16_f32_e32 v65, v65
	v_pk_fma_f32 v[24:25], v[56:57], v[72:73], v[24:25] op_sel_hi:[1,0,1]
	v_cvt_f32_f16_sdwa v58, v58 dst_sel:DWORD dst_unused:UNUSED_PAD src0_sel:WORD_1
	v_cvt_f32_f16_e32 v75, v61
	v_pk_fma_f32 v[40:41], v[56:57], v[64:65], v[40:41] op_sel_hi:[1,0,1]
	v_cvt_f32_f16_e32 v74, v65
	v_sub_u32_sdwa v61, v53, v126 dst_sel:DWORD dst_unused:UNUSED_PAD src0_sel:BYTE_1 src1_sel:DWORD
	v_sub_u32_sdwa v65, v52, v127 dst_sel:DWORD dst_unused:UNUSED_PAD src0_sel:BYTE_1 src1_sel:DWORD
	v_cvt_f32_i32_e32 v61, v61
	v_cvt_f32_i32_e32 v65, v65
	v_cvt_f32_f16_sdwa v62, v62 dst_sel:DWORD dst_unused:UNUSED_PAD src0_sel:WORD_1
	v_pk_fma_f32 v[42:43], v[74:75], v[72:73], v[42:43] op_sel_hi:[1,0,1]
	v_cvt_f16_f32_e32 v56, v61
	v_cvt_f16_f32_e32 v61, v65
	v_pk_fma_f32 v[32:33], v[74:75], v[64:65], v[32:33] op_sel_hi:[1,0,1]
	v_cvt_f32_f16_e32 v57, v56
	v_pk_fma_f32 v[30:31], v[74:75], v[60:61], v[30:31] op_sel_hi:[1,0,1]
	v_sub_u32_sdwa v60, v55, v102 dst_sel:DWORD dst_unused:UNUSED_PAD src0_sel:BYTE_1 src1_sel:DWORD
	v_cvt_f32_f16_e32 v56, v61
	v_cvt_f32_i32_e32 v61, v60
	v_sub_u32_sdwa v60, v54, v68 dst_sel:DWORD dst_unused:UNUSED_PAD src0_sel:BYTE_1 src1_sel:DWORD
	v_cvt_f32_i32_e32 v64, v60
	v_cvt_f32_f16_sdwa v60, v66 dst_sel:DWORD dst_unused:UNUSED_PAD src0_sel:WORD_1
	v_cvt_f16_f32_e32 v61, v61
	v_pk_fma_f32 v[34:35], v[56:57], v[58:59], v[34:35] op_sel_hi:[1,0,1]
	v_cvt_f16_f32_e32 v64, v64
	v_pk_fma_f32 v[24:25], v[56:57], v[62:63], v[24:25] op_sel_hi:[1,0,1]
	v_pk_fma_f32 v[40:41], v[56:57], v[60:61], v[40:41] op_sel_hi:[1,0,1]
	v_sub_u32_sdwa v56, v53, v126 dst_sel:DWORD dst_unused:UNUSED_PAD src0_sel:BYTE_2 src1_sel:DWORD
	v_cvt_f32_i32_e32 v56, v56
	v_sub_u32_sdwa v57, v52, v127 dst_sel:DWORD dst_unused:UNUSED_PAD src0_sel:BYTE_2 src1_sel:DWORD
	v_cvt_f32_f16_e32 v65, v61
	v_cvt_f32_f16_e32 v64, v64
	v_cvt_f32_i32_e32 v57, v57
	v_cvt_f16_f32_e32 v56, v56
	v_pk_fma_f32 v[30:31], v[64:65], v[58:59], v[30:31] op_sel_hi:[1,0,1]
	v_cvt_f16_f32_e32 v58, v57
	v_cvt_f32_f16_e32 v57, v56
	v_sub_u32_sdwa v56, v55, v102 dst_sel:DWORD dst_unused:UNUSED_PAD src0_sel:BYTE_2 src1_sel:DWORD
	v_pk_fma_f32 v[32:33], v[64:65], v[60:61], v[32:33] op_sel_hi:[1,0,1]
	v_cvt_f32_i32_e32 v60, v56
	v_cvt_f32_f16_e32 v56, v58
	v_sub_u32_sdwa v58, v54, v68 dst_sel:DWORD dst_unused:UNUSED_PAD src0_sel:BYTE_2 src1_sel:DWORD
	v_cvt_f32_i32_e32 v58, v58
	v_pk_fma_f32 v[42:43], v[64:65], v[62:63], v[42:43] op_sel_hi:[1,0,1]
	v_cvt_f16_f32_e32 v62, v60
	v_add_co_u32_e32 v60, vcc, s12, v123
	v_addc_co_u32_e32 v61, vcc, v125, v124, vcc
	global_load_dwordx4 v[72:75], v[60:61], off offset:-8
	v_cvt_f16_f32_e32 v61, v58
	v_cvt_f32_f16_e32 v60, v67
	v_cvt_f32_f16_e32 v58, v59
	;; [unrolled: 1-line block ×4, first 2 shown]
	v_pk_fma_f32 v[80:81], v[56:57], v[60:61], v[40:41] op_sel_hi:[1,0,1]
	v_add_co_u32_e32 v40, vcc, s12, v121
	v_addc_co_u32_e32 v41, vcc, v125, v122, vcc
	global_load_dwordx4 v[76:79], v[40:41], off offset:-8
	v_cvt_f32_f16_e32 v62, v63
	v_sub_u32_sdwa v40, v53, v126 dst_sel:DWORD dst_unused:UNUSED_PAD src0_sel:BYTE_3 src1_sel:DWORD
	v_cvt_f32_i32_e32 v40, v40
	v_pk_fma_f32 v[34:35], v[56:57], v[58:59], v[34:35] op_sel_hi:[1,0,1]
	v_pk_fma_f32 v[24:25], v[56:57], v[62:63], v[24:25] op_sel_hi:[1,0,1]
	;; [unrolled: 1-line block ×3, first 2 shown]
	v_sub_u32_sdwa v41, v52, v127 dst_sel:DWORD dst_unused:UNUSED_PAD src0_sel:BYTE_3 src1_sel:DWORD
	v_sub_u32_sdwa v42, v55, v102 dst_sel:DWORD dst_unused:UNUSED_PAD src0_sel:BYTE_3 src1_sel:DWORD
	;; [unrolled: 1-line block ×3, first 2 shown]
	v_cvt_f32_i32_e32 v41, v41
	v_cvt_f16_f32_e32 v40, v40
	v_cvt_f32_i32_e32 v42, v42
	v_cvt_f32_i32_e32 v43, v43
	v_pk_fma_f32 v[30:31], v[64:65], v[58:59], v[30:31] op_sel_hi:[1,0,1]
	v_cvt_f32_f16_sdwa v52, v59 dst_sel:DWORD dst_unused:UNUSED_PAD src0_sel:WORD_1
	v_cvt_f16_f32_e32 v41, v41
	v_cvt_f32_f16_e32 v59, v40
	v_cvt_f16_f32_e32 v40, v42
	v_cvt_f16_f32_e32 v42, v43
	v_cvt_f32_f16_sdwa v54, v63 dst_sel:DWORD dst_unused:UNUSED_PAD src0_sel:WORD_1
	v_cvt_f32_f16_e32 v58, v41
	v_cvt_f32_f16_e32 v63, v40
	v_cvt_f32_f16_e32 v62, v42
	v_pk_fma_f32 v[32:33], v[64:65], v[60:61], v[32:33] op_sel_hi:[1,0,1]
	v_pk_fma_f32 v[40:41], v[58:59], v[52:53], v[34:35] op_sel_hi:[1,0,1]
	;; [unrolled: 1-line block ×5, first 2 shown]
	v_cvt_f32_f16_sdwa v60, v67 dst_sel:DWORD dst_unused:UNUSED_PAD src0_sel:WORD_1
	s_waitcnt lgkmcnt(0)
	v_cvt_f32_f16_e32 v64, v36
	v_cvt_f32_f16_sdwa v36, v36 dst_sel:DWORD dst_unused:UNUSED_PAD src0_sel:WORD_1
	s_add_u32 s12, s12, s0
	v_pk_fma_f32 v[42:43], v[58:59], v[60:61], v[80:81] op_sel_hi:[1,0,1]
	v_pk_fma_f32 v[32:33], v[62:63], v[60:61], v[32:33] op_sel_hi:[1,0,1]
	v_cvt_f32_f16_e32 v60, v48
	v_cvt_f32_f16_sdwa v48, v48 dst_sel:DWORD dst_unused:UNUSED_PAD src0_sel:WORD_1
	s_addc_u32 s13, s13, s1
	s_add_i32 s2, s2, 64
	s_cmp_ge_i32 s24, s25
	s_waitcnt vmcnt(1)
	v_sub_u32_sdwa v81, v73, v126 dst_sel:DWORD dst_unused:UNUSED_PAD src0_sel:BYTE_0 src1_sel:DWORD
	v_sub_u32_sdwa v82, v73, v126 dst_sel:DWORD dst_unused:UNUSED_PAD src0_sel:BYTE_1 src1_sel:DWORD
	v_sub_u32_sdwa v84, v73, v126 dst_sel:DWORD dst_unused:UNUSED_PAD src0_sel:BYTE_2 src1_sel:DWORD
	v_sub_u32_sdwa v86, v73, v126 dst_sel:DWORD dst_unused:UNUSED_PAD src0_sel:BYTE_3 src1_sel:DWORD
	v_sub_u32_sdwa v73, v75, v102 dst_sel:DWORD dst_unused:UNUSED_PAD src0_sel:BYTE_0 src1_sel:DWORD
	v_sub_u32_sdwa v88, v75, v102 dst_sel:DWORD dst_unused:UNUSED_PAD src0_sel:BYTE_1 src1_sel:DWORD
	v_sub_u32_sdwa v90, v75, v102 dst_sel:DWORD dst_unused:UNUSED_PAD src0_sel:BYTE_2 src1_sel:DWORD
	v_sub_u32_sdwa v92, v75, v102 dst_sel:DWORD dst_unused:UNUSED_PAD src0_sel:BYTE_3 src1_sel:DWORD
	v_sub_u32_sdwa v80, v72, v127 dst_sel:DWORD dst_unused:UNUSED_PAD src0_sel:BYTE_0 src1_sel:DWORD
	v_sub_u32_sdwa v83, v72, v127 dst_sel:DWORD dst_unused:UNUSED_PAD src0_sel:BYTE_1 src1_sel:DWORD
	v_sub_u32_sdwa v85, v72, v127 dst_sel:DWORD dst_unused:UNUSED_PAD src0_sel:BYTE_2 src1_sel:DWORD
	s_waitcnt vmcnt(0)
	v_sub_u32_sdwa v52, v76, v127 dst_sel:DWORD dst_unused:UNUSED_PAD src0_sel:BYTE_0 src1_sel:DWORD
	v_sub_u32_sdwa v53, v76, v127 dst_sel:DWORD dst_unused:UNUSED_PAD src0_sel:BYTE_1 src1_sel:DWORD
	v_sub_u32_sdwa v54, v77, v126 dst_sel:DWORD dst_unused:UNUSED_PAD src0_sel:BYTE_0 src1_sel:DWORD
	v_sub_u32_sdwa v55, v77, v126 dst_sel:DWORD dst_unused:UNUSED_PAD src0_sel:BYTE_1 src1_sel:DWORD
	v_cvt_f32_i32_e32 v54, v54
	v_cvt_f32_i32_e32 v52, v52
	;; [unrolled: 1-line block ×4, first 2 shown]
	v_cvt_f16_f32_e32 v54, v54
	v_cvt_f16_f32_e32 v52, v52
	;; [unrolled: 1-line block ×4, first 2 shown]
	v_cvt_f32_f16_e32 v53, v54
	v_cvt_f32_f16_e32 v52, v52
	;; [unrolled: 1-line block ×5, first 2 shown]
	v_cvt_f32_f16_sdwa v44, v44 dst_sel:DWORD dst_unused:UNUSED_PAD src0_sel:WORD_1
	v_sub_u32_sdwa v65, v76, v127 dst_sel:DWORD dst_unused:UNUSED_PAD src0_sel:BYTE_2 src1_sel:DWORD
	v_sub_u32_sdwa v57, v78, v68 dst_sel:DWORD dst_unused:UNUSED_PAD src0_sel:BYTE_0 src1_sel:DWORD
	v_sub_u32_sdwa v61, v78, v68 dst_sel:DWORD dst_unused:UNUSED_PAD src0_sel:BYTE_1 src1_sel:DWORD
	v_sub_u32_sdwa v66, v79, v102 dst_sel:DWORD dst_unused:UNUSED_PAD src0_sel:BYTE_0 src1_sel:DWORD
	v_pk_fma_f32 v[58:59], v[52:53], v[56:57], 0 op_sel_hi:[1,0,0]
	v_pk_fma_f32 v[62:63], v[52:53], v[60:61], 0 op_sel_hi:[1,0,0]
	;; [unrolled: 1-line block ×6, first 2 shown]
	v_cvt_f32_i32_e32 v54, v66
	v_cvt_f32_i32_e32 v55, v57
	v_sub_u32_sdwa v67, v79, v102 dst_sel:DWORD dst_unused:UNUSED_PAD src0_sel:BYTE_1 src1_sel:DWORD
	v_cvt_f32_i32_e32 v61, v61
	v_cvt_f16_f32_e32 v54, v54
	v_cvt_f16_f32_e32 v57, v55
	v_sub_u32_sdwa v75, v77, v126 dst_sel:DWORD dst_unused:UNUSED_PAD src0_sel:BYTE_2 src1_sel:DWORD
	v_cvt_f16_f32_e32 v61, v61
	v_cvt_f32_f16_e32 v55, v54
	v_cvt_f32_f16_e32 v54, v57
	v_cvt_f32_i32_e32 v57, v67
	v_cvt_f32_f16_e32 v66, v61
	v_sub_u32_sdwa v87, v72, v127 dst_sel:DWORD dst_unused:UNUSED_PAD src0_sel:BYTE_3 src1_sel:DWORD
	v_pk_fma_f32 v[60:61], v[54:55], v[60:61], 0 op_sel_hi:[1,0,0]
	v_cvt_f16_f32_e32 v57, v57
	v_sub_u32_sdwa v72, v74, v68 dst_sel:DWORD dst_unused:UNUSED_PAD src0_sel:BYTE_0 src1_sel:DWORD
	v_sub_u32_sdwa v89, v74, v68 dst_sel:DWORD dst_unused:UNUSED_PAD src0_sel:BYTE_1 src1_sel:DWORD
	v_sub_u32_sdwa v91, v74, v68 dst_sel:DWORD dst_unused:UNUSED_PAD src0_sel:BYTE_2 src1_sel:DWORD
	v_cvt_f32_f16_e32 v67, v57
	v_pk_fma_f32 v[56:57], v[54:55], v[56:57], 0 op_sel_hi:[1,0,0]
	v_pk_fma_f32 v[54:55], v[54:55], v[64:65], 0 op_sel_hi:[1,0,0]
	v_sub_u32_sdwa v93, v74, v68 dst_sel:DWORD dst_unused:UNUSED_PAD src0_sel:BYTE_3 src1_sel:DWORD
	v_pk_fma_f32 v[56:57], v[66:67], v[44:45], v[56:57] op_sel_hi:[1,0,1]
	v_pk_fma_f32 v[54:55], v[66:67], v[36:37], v[54:55] op_sel_hi:[1,0,1]
	v_cvt_f32_i32_e32 v36, v75
	v_cvt_f32_i32_e32 v44, v65
	v_pk_fma_f32 v[60:61], v[66:67], v[48:49], v[60:61] op_sel_hi:[1,0,1]
	v_cvt_f32_f16_e32 v48, v37
	v_cvt_f16_f32_e32 v36, v36
	v_cvt_f16_f32_e32 v44, v44
	v_sub_u32_sdwa v74, v76, v127 dst_sel:DWORD dst_unused:UNUSED_PAD src0_sel:BYTE_3 src1_sel:DWORD
	v_sub_u32_sdwa v76, v77, v126 dst_sel:DWORD dst_unused:UNUSED_PAD src0_sel:BYTE_3 src1_sel:DWORD
	v_cvt_f32_f16_e32 v65, v36
	v_cvt_f32_f16_e32 v64, v44
	;; [unrolled: 1-line block ×4, first 2 shown]
	v_sub_u32_sdwa v77, v78, v68 dst_sel:DWORD dst_unused:UNUSED_PAD src0_sel:BYTE_2 src1_sel:DWORD
	v_sub_u32_sdwa v94, v78, v68 dst_sel:DWORD dst_unused:UNUSED_PAD src0_sel:BYTE_3 src1_sel:DWORD
	v_sub_u32_sdwa v68, v79, v102 dst_sel:DWORD dst_unused:UNUSED_PAD src0_sel:BYTE_2 src1_sel:DWORD
	v_pk_fma_f32 v[58:59], v[64:65], v[36:37], v[58:59] op_sel_hi:[1,0,1]
	v_pk_fma_f32 v[62:63], v[64:65], v[44:45], v[62:63] op_sel_hi:[1,0,1]
	v_pk_fma_f32 v[52:53], v[64:65], v[48:49], v[52:53] op_sel_hi:[1,0,1]
	v_cvt_f32_i32_e32 v64, v77
	v_cvt_f32_i32_e32 v65, v68
	v_sub_u32_sdwa v78, v79, v102 dst_sel:DWORD dst_unused:UNUSED_PAD src0_sel:BYTE_3 src1_sel:DWORD
	v_cvt_f16_f32_e32 v64, v64
	v_cvt_f16_f32_e32 v65, v65
	v_cvt_f32_f16_e32 v64, v64
	v_cvt_f32_f16_e32 v65, v65
	v_pk_fma_f32 v[56:57], v[64:65], v[36:37], v[56:57] op_sel_hi:[1,0,1]
	v_pk_fma_f32 v[60:61], v[64:65], v[44:45], v[60:61] op_sel_hi:[1,0,1]
	v_cvt_f32_i32_e32 v36, v76
	v_cvt_f32_i32_e32 v44, v74
	v_pk_fma_f32 v[54:55], v[64:65], v[48:49], v[54:55] op_sel_hi:[1,0,1]
	v_cvt_f32_f16_sdwa v48, v49 dst_sel:DWORD dst_unused:UNUSED_PAD src0_sel:WORD_1
	v_cvt_f16_f32_e32 v36, v36
	v_cvt_f16_f32_e32 v44, v44
	v_cvt_f32_f16_e32 v65, v36
	v_cvt_f32_f16_e32 v64, v44
	v_cvt_f32_f16_sdwa v36, v45 dst_sel:DWORD dst_unused:UNUSED_PAD src0_sel:WORD_1
	v_pk_fma_f32 v[44:45], v[64:65], v[36:37], v[58:59] op_sel_hi:[1,0,1]
	v_pk_fma_f32 v[58:59], v[64:65], v[48:49], v[62:63] op_sel_hi:[1,0,1]
	v_cvt_f32_f16_sdwa v62, v37 dst_sel:DWORD dst_unused:UNUSED_PAD src0_sel:WORD_1
	v_cvt_f32_i32_e32 v37, v78
	v_cvt_f32_i32_e32 v49, v94
	v_pk_fma_f32 v[52:53], v[64:65], v[62:63], v[52:53] op_sel_hi:[1,0,1]
	v_cvt_f16_f32_e32 v37, v37
	v_cvt_f16_f32_e32 v49, v49
	v_cvt_f32_f16_e32 v65, v37
	v_cvt_f32_f16_e32 v64, v49
	v_cvt_f32_i32_e32 v49, v81
	v_pk_fma_f32 v[36:37], v[64:65], v[36:37], v[56:57] op_sel_hi:[1,0,1]
	v_cvt_f32_i32_e32 v56, v80
	v_cvt_f16_f32_e32 v57, v49
	v_pk_fma_f32 v[48:49], v[64:65], v[48:49], v[60:61] op_sel_hi:[1,0,1]
	v_pk_fma_f32 v[54:55], v[64:65], v[62:63], v[54:55] op_sel_hi:[1,0,1]
	v_cvt_f16_f32_e32 v56, v56
	v_cvt_f32_i32_e32 v61, v73
	v_cvt_f32_i32_e32 v62, v72
	v_cvt_f32_f16_e32 v57, v57
	v_cvt_f32_f16_e32 v56, v56
	v_cvt_f32_f16_e32 v60, v46
	v_cvt_f16_f32_e32 v61, v61
	v_cvt_f16_f32_e32 v63, v62
	v_cvt_f32_f16_e32 v62, v50
	v_cvt_f32_f16_e32 v64, v38
	;; [unrolled: 1-line block ×4, first 2 shown]
	v_pk_fma_f32 v[72:73], v[56:57], v[60:61], v[44:45] op_sel_hi:[1,0,1]
	v_cvt_f32_i32_e32 v44, v82
	v_cvt_f32_i32_e32 v45, v83
	v_pk_fma_f32 v[58:59], v[56:57], v[62:63], v[58:59] op_sel_hi:[1,0,1]
	v_pk_fma_f32 v[52:53], v[56:57], v[64:65], v[52:53] op_sel_hi:[1,0,1]
	;; [unrolled: 1-line block ×5, first 2 shown]
	v_cvt_f32_f16_sdwa v54, v46 dst_sel:DWORD dst_unused:UNUSED_PAD src0_sel:WORD_1
	v_cvt_f32_f16_e32 v60, v47
	v_cvt_f32_f16_sdwa v62, v47 dst_sel:DWORD dst_unused:UNUSED_PAD src0_sel:WORD_1
	v_cvt_f16_f32_e32 v46, v44
	v_cvt_f16_f32_e32 v45, v45
	v_cvt_f32_i32_e32 v47, v84
	v_cvt_f32_f16_e32 v44, v39
	v_cvt_f32_f16_e32 v75, v46
	;; [unrolled: 1-line block ×3, first 2 shown]
	v_cvt_f32_f16_sdwa v46, v39 dst_sel:DWORD dst_unused:UNUSED_PAD src0_sel:WORD_1
	v_cvt_f32_i32_e32 v39, v85
	v_cvt_f16_f32_e32 v45, v47
	v_cvt_f32_f16_sdwa v38, v38 dst_sel:DWORD dst_unused:UNUSED_PAD src0_sel:WORD_1
	v_cvt_f32_i32_e32 v47, v87
	v_cvt_f16_f32_e32 v39, v39
	v_cvt_f32_f16_e32 v77, v45
	v_cvt_f32_i32_e32 v45, v86
	v_cvt_f32_f16_sdwa v50, v50 dst_sel:DWORD dst_unused:UNUSED_PAD src0_sel:WORD_1
	v_cvt_f32_f16_e32 v64, v51
	v_cvt_f32_f16_e32 v76, v39
	v_pk_fma_f32 v[52:53], v[74:75], v[38:39], v[52:53] op_sel_hi:[1,0,1]
	v_cvt_f16_f32_e32 v39, v45
	v_cvt_f16_f32_e32 v45, v47
	v_pk_fma_f32 v[72:73], v[74:75], v[54:55], v[72:73] op_sel_hi:[1,0,1]
	v_pk_fma_f32 v[58:59], v[74:75], v[50:51], v[58:59] op_sel_hi:[1,0,1]
	v_cvt_f32_f16_sdwa v66, v51 dst_sel:DWORD dst_unused:UNUSED_PAD src0_sel:WORD_1
	v_pk_fma_f32 v[72:73], v[76:77], v[60:61], v[72:73] op_sel_hi:[1,0,1]
	v_pk_fma_f32 v[58:59], v[76:77], v[64:65], v[58:59] op_sel_hi:[1,0,1]
	v_cvt_f32_f16_e32 v75, v39
	v_cvt_f32_f16_e32 v74, v45
	v_pk_fma_f32 v[52:53], v[76:77], v[44:45], v[52:53] op_sel_hi:[1,0,1]
	v_cvt_f32_f16_sdwa v77, v70 dst_sel:DWORD dst_unused:UNUSED_PAD src0_sel:WORD_1
	v_cvt_f32_f16_e32 v76, v70
	v_pk_fma_f32 v[72:73], v[74:75], v[62:63], v[72:73] op_sel_hi:[1,0,1]
	v_pk_fma_f32 v[58:59], v[74:75], v[66:67], v[58:59] op_sel_hi:[1,0,1]
	;; [unrolled: 1-line block ×3, first 2 shown]
	v_pk_mul_f32 v[74:75], v[16:17], v[76:77]
	v_cvt_f32_i32_e32 v16, v88
	v_cvt_f32_i32_e32 v17, v89
	;; [unrolled: 1-line block ×3, first 2 shown]
	v_pk_mul_f32 v[20:21], v[20:21], v[76:77]
	v_cvt_f16_f32_e32 v16, v16
	v_cvt_f16_f32_e32 v39, v17
	v_cvt_f16_f32_e32 v21, v21
	v_cvt_f16_f32_e32 v20, v20
	v_cvt_f32_f16_e32 v17, v16
	v_cvt_f32_f16_e32 v16, v39
	v_cvt_f32_i32_e32 v39, v90
	v_cvt_f16_f32_e32 v45, v45
	v_pk_mul_f32 v[26:27], v[26:27], v[76:77]
	v_pk_mul_f32 v[28:29], v[28:29], v[76:77]
	v_cvt_f16_f32_e32 v39, v39
	v_pk_mul_f32 v[18:19], v[18:19], v[76:77]
	v_pack_b32_f16 v20, v20, v21
	v_cvt_f16_f32_e32 v21, v27
	v_cvt_f16_f32_e32 v26, v26
	v_cvt_f16_f32_e32 v27, v29
	v_cvt_f16_f32_e32 v28, v28
	v_cvt_f32_f16_e32 v79, v39
	v_cvt_f32_f16_e32 v78, v45
	v_cvt_f16_f32_e32 v39, v19
	v_cvt_f16_f32_e32 v45, v18
	v_pk_mul_f32 v[40:41], v[40:41], v[76:77]
	v_pack_b32_f16 v21, v26, v21
	v_pack_b32_f16 v26, v28, v27
	v_cvt_f16_f32_e32 v27, v41
	v_cvt_f16_f32_e32 v28, v40
	v_pack_b32_f16 v39, v45, v39
	v_pk_mul_f32 v[42:43], v[42:43], v[76:77]
	v_pk_add_f16 v39, v118, v39
	v_pk_mul_f32 v[22:23], v[22:23], v[76:77]
	v_pk_add_f16 v20, v103, v20
	v_pk_add_f16 v21, v39, v21
	v_cvt_f16_f32_e32 v29, v43
	v_cvt_f16_f32_e32 v39, v42
	v_pk_add_f16 v20, v20, v26
	v_pack_b32_f16 v26, v28, v27
	v_cvt_f16_f32_e32 v27, v75
	v_cvt_f16_f32_e32 v28, v74
	;; [unrolled: 1-line block ×4, first 2 shown]
	v_pk_mul_f32 v[34:35], v[34:35], v[76:77]
	v_pk_add_f16 v21, v21, v26
	v_pack_b32_f16 v26, v39, v29
	v_pk_mul_f32 v[72:73], v[72:73], v[76:77]
	v_pk_add_f16 v26, v20, v26
	v_pack_b32_f16 v20, v28, v27
	v_pack_b32_f16 v22, v22, v23
	v_cvt_f16_f32_e32 v23, v35
	v_cvt_f16_f32_e32 v27, v34
	;; [unrolled: 1-line block ×4, first 2 shown]
	v_pk_add_f16 v20, v106, v20
	v_pk_add_f16 v20, v20, v22
	v_pack_b32_f16 v22, v27, v23
	v_pk_mul_f32 v[58:59], v[58:59], v[76:77]
	v_pk_add_f16 v22, v20, v22
	v_pack_b32_f16 v20, v29, v28
	v_cvt_f16_f32_e32 v23, v59
	v_cvt_f16_f32_e32 v27, v58
	v_pk_add_f16 v118, v21, v20
	v_cvt_f32_f16_sdwa v21, v71 dst_sel:DWORD dst_unused:UNUSED_PAD src0_sel:WORD_1
	v_cvt_f32_f16_e32 v20, v71
	v_pack_b32_f16 v23, v27, v23
	v_pk_add_f16 v106, v22, v23
	v_cvt_f32_i32_e32 v47, v92
	v_pk_mul_f32 v[12:13], v[12:13], v[20:21]
	v_cvt_f16_f32_e32 v23, v13
	v_cvt_f16_f32_e32 v27, v12
	v_pk_mul_f32 v[12:13], v[14:15], v[20:21]
	v_cvt_f16_f32_e32 v13, v13
	v_cvt_f16_f32_e32 v12, v12
	;; [unrolled: 3-line block ×3, first 2 shown]
	v_pack_b32_f16 v15, v12, v13
	v_pk_mul_f32 v[12:13], v[32:33], v[20:21]
	v_cvt_f16_f32_e32 v13, v13
	v_cvt_f16_f32_e32 v12, v12
	v_cvt_f32_i32_e32 v51, v93
	v_cvt_f16_f32_e32 v47, v47
	v_pk_mul_f32 v[4:5], v[4:5], v[20:21]
	v_pack_b32_f16 v12, v12, v13
	v_pack_b32_f16 v13, v8, v9
	v_pk_mul_f32 v[8:9], v[10:11], v[20:21]
	v_cvt_f16_f32_e32 v10, v9
	v_cvt_f16_f32_e32 v11, v8
	v_pk_mul_f32 v[8:9], v[30:31], v[20:21]
	v_cvt_f16_f32_e32 v9, v9
	v_cvt_f16_f32_e32 v8, v8
	;; [unrolled: 1-line block ×3, first 2 shown]
	v_pack_b32_f16 v10, v11, v10
	v_cvt_f16_f32_e32 v11, v4
	v_pack_b32_f16 v8, v8, v9
	v_cvt_f16_f32_e32 v9, v5
	v_pk_mul_f32 v[4:5], v[6:7], v[20:21]
	v_cvt_f32_f16_e32 v81, v47
	v_cvt_f32_f16_e32 v80, v51
	v_cvt_f16_f32_e32 v5, v5
	v_cvt_f16_f32_e32 v4, v4
	v_pk_fma_f32 v[54:55], v[16:17], v[54:55], v[56:57] op_sel_hi:[1,0,1]
	v_pk_add_f16 v13, v109, v13
	v_pk_fma_f32 v[54:55], v[78:79], v[60:61], v[54:55] op_sel_hi:[1,0,1]
	v_pk_add_f16 v10, v13, v10
	;; [unrolled: 2-line block ×3, first 2 shown]
	v_pack_b32_f16 v8, v4, v5
	v_pk_mul_f32 v[4:5], v[24:25], v[20:21]
	v_pack_b32_f16 v7, v11, v9
	v_cvt_f16_f32_e32 v9, v5
	v_cvt_f16_f32_e32 v10, v4
	v_pk_mul_f32 v[4:5], v[54:55], v[20:21]
	v_cvt_f16_f32_e32 v5, v5
	v_cvt_f16_f32_e32 v4, v4
	v_pk_fma_f32 v[48:49], v[16:17], v[50:51], v[48:49] op_sel_hi:[1,0,1]
	v_pk_fma_f32 v[48:49], v[78:79], v[64:65], v[48:49] op_sel_hi:[1,0,1]
	v_pk_add_f16 v7, v104, v7
	v_pk_fma_f32 v[18:19], v[80:81], v[66:67], v[48:49] op_sel_hi:[1,0,1]
	v_pk_add_f16 v7, v7, v8
	v_pack_b32_f16 v8, v10, v9
	v_pk_add_f16 v7, v7, v8
	v_pack_b32_f16 v8, v4, v5
	v_pk_mul_f32 v[4:5], v[18:19], v[20:21]
	v_cvt_f16_f32_e32 v9, v5
	v_cvt_f16_f32_e32 v10, v4
	v_pk_fma_f32 v[4:5], v[16:17], v[38:39], v[36:37] op_sel_hi:[1,0,1]
	v_pk_fma_f32 v[4:5], v[78:79], v[44:45], v[4:5] op_sel_hi:[1,0,1]
	;; [unrolled: 1-line block ×3, first 2 shown]
	v_pk_mul_f32 v[52:53], v[52:53], v[76:77]
	v_pk_mul_f32 v[4:5], v[4:5], v[20:21]
	v_cvt_f16_f32_e32 v28, v53
	v_cvt_f16_f32_e32 v29, v52
	;; [unrolled: 1-line block ×4, first 2 shown]
	v_pack_b32_f16 v14, v27, v23
	v_pk_add_f16 v14, v69, v14
	v_pk_add_f16 v14, v14, v15
	v_pack_b32_f16 v22, v29, v28
	v_pk_add_f16 v12, v14, v12
	v_pk_add_f16 v109, v6, v8
	v_pack_b32_f16 v6, v10, v9
	v_pack_b32_f16 v4, v4, v5
	v_pk_add_f16 v103, v26, v22
	v_pk_add_f16 v104, v7, v6
	;; [unrolled: 1-line block ×3, first 2 shown]
	s_cbranch_scc1 .LBB26_14
.LBB26_12:                              ; =>This Inner Loop Header: Depth=1
	s_cmp_lg_u32 s24, s5
	s_cbranch_scc1 .LBB26_11
; %bb.13:                               ;   in Loop: Header=BB26_12 Depth=1
	buffer_load_dword v0, off, s[28:31], 0 offset:8 ; 4-byte Folded Reload
	s_add_i32 s4, s4, 1
	s_mul_i32 s6, s4, s20
	s_ashr_i32 s8, s6, 31
	s_lshr_b32 s8, s8, 30
	s_add_i32 s8, s6, s8
	s_ashr_i32 s8, s8, 2
	v_mov_b32_e32 v2, s15
	s_add_i32 s5, s5, s3
	s_waitcnt vmcnt(0)
	v_add_u32_e32 v0, s8, v0
	v_ashrrev_i32_e32 v1, 31, v0
	v_lshlrev_b64 v[0:1], 2, v[0:1]
	v_add_co_u32_e32 v0, vcc, s14, v0
	v_addc_co_u32_e32 v1, vcc, v2, v1, vcc
	global_load_dword v3, v[0:1], off
	s_nop 0
	buffer_load_dword v0, off, s[28:31], 0  ; 4-byte Folded Reload
	buffer_load_dword v1, off, s[28:31], 0 offset:4 ; 4-byte Folded Reload
	v_mov_b32_e32 v2, s17
	s_waitcnt vmcnt(1)
	v_add_u32_e32 v0, s6, v0
	s_waitcnt vmcnt(0)
	v_ashrrev_i32_e32 v1, 31, v0
	v_lshlrev_b64 v[0:1], 1, v[0:1]
	v_add_co_u32_e32 v0, vcc, s16, v0
	v_addc_co_u32_e32 v1, vcc, v2, v1, vcc
	global_load_dwordx2 v[70:71], v[0:1], off
	v_and_b32_e32 v0, 0xff, v3
	v_bfe_u32 v1, v3, 8, 8
	v_bfe_u32 v2, v3, 16, 8
	v_lshrrev_b32_e32 v3, 24, v3
	s_branch .LBB26_11
.LBB26_14:
	buffer_load_dword v0, off, s[28:31], 0  ; 4-byte Folded Reload
	buffer_load_dword v1, off, s[28:31], 0 offset:4 ; 4-byte Folded Reload
	s_mul_i32 s7, s7, s20
	s_mov_b64 s[0:1], 0
	s_waitcnt vmcnt(1)
	v_add_u32_e32 v0, s7, v0
	s_waitcnt vmcnt(0)
	v_ashrrev_i32_e32 v1, 31, v0
	v_lshlrev_b64 v[2:3], 1, v[0:1]
	v_mov_b32_e32 v1, s19
	v_add_co_u32_e32 v2, vcc, s18, v2
	v_addc_co_u32_e32 v3, vcc, v1, v3, vcc
	global_load_dword v5, v[2:3], off
.LBB26_15:                              ; =>This Inner Loop Header: Depth=1
	s_waitcnt vmcnt(0)
	v_pk_add_f16 v4, v118, v5
	global_atomic_cmpswap v1, v[2:3], v[4:5], off glc
	s_waitcnt vmcnt(0)
	v_cmp_eq_u32_e32 vcc, v5, v1
	s_or_b64 s[0:1], vcc, s[0:1]
	v_mov_b32_e32 v5, v1
	s_andn2_b64 exec, exec, s[0:1]
	s_cbranch_execnz .LBB26_15
; %bb.16:
	s_or_b64 exec, exec, s[0:1]
	global_load_dword v5, v[2:3], off offset:4
	s_mov_b64 s[0:1], 0
.LBB26_17:                              ; =>This Inner Loop Header: Depth=1
	s_waitcnt vmcnt(0)
	v_pk_add_f16 v4, v109, v5
	global_atomic_cmpswap v1, v[2:3], v[4:5], off offset:4 glc
	s_waitcnt vmcnt(0)
	v_cmp_eq_u32_e32 vcc, v5, v1
	s_or_b64 s[0:1], vcc, s[0:1]
	v_mov_b32_e32 v5, v1
	s_andn2_b64 exec, exec, s[0:1]
	s_cbranch_execnz .LBB26_17
; %bb.18:
	s_or_b64 exec, exec, s[0:1]
	v_add_u32_e32 v0, s20, v0
	v_ashrrev_i32_e32 v1, 31, v0
	v_lshlrev_b64 v[2:3], 1, v[0:1]
	v_mov_b32_e32 v1, s19
	v_add_co_u32_e32 v2, vcc, s18, v2
	v_addc_co_u32_e32 v3, vcc, v1, v3, vcc
	global_load_dword v5, v[2:3], off
	s_mov_b64 s[0:1], 0
.LBB26_19:                              ; =>This Inner Loop Header: Depth=1
	s_waitcnt vmcnt(0)
	v_pk_add_f16 v4, v106, v5
	global_atomic_cmpswap v1, v[2:3], v[4:5], off glc
	s_waitcnt vmcnt(0)
	v_cmp_eq_u32_e32 vcc, v5, v1
	s_or_b64 s[0:1], vcc, s[0:1]
	v_mov_b32_e32 v5, v1
	s_andn2_b64 exec, exec, s[0:1]
	s_cbranch_execnz .LBB26_19
; %bb.20:
	s_or_b64 exec, exec, s[0:1]
	global_load_dword v5, v[2:3], off offset:4
	s_mov_b64 s[0:1], 0
.LBB26_21:                              ; =>This Inner Loop Header: Depth=1
	s_waitcnt vmcnt(0)
	v_pk_add_f16 v4, v104, v5
	global_atomic_cmpswap v1, v[2:3], v[4:5], off offset:4 glc
	s_waitcnt vmcnt(0)
	v_cmp_eq_u32_e32 vcc, v5, v1
	s_or_b64 s[0:1], vcc, s[0:1]
	v_mov_b32_e32 v5, v1
	s_andn2_b64 exec, exec, s[0:1]
	s_cbranch_execnz .LBB26_21
; %bb.22:
	s_or_b64 exec, exec, s[0:1]
	v_add_u32_e32 v0, s20, v0
	v_ashrrev_i32_e32 v1, 31, v0
	v_lshlrev_b64 v[0:1], 1, v[0:1]
	v_mov_b32_e32 v2, s19
	v_add_co_u32_e32 v0, vcc, s18, v0
	v_addc_co_u32_e32 v1, vcc, v2, v1, vcc
	global_load_dword v3, v[0:1], off
	s_mov_b64 s[0:1], 0
.LBB26_23:                              ; =>This Inner Loop Header: Depth=1
	s_waitcnt vmcnt(0)
	v_pk_add_f16 v2, v103, v3
	global_atomic_cmpswap v2, v[0:1], v[2:3], off glc
	s_waitcnt vmcnt(0)
	v_cmp_eq_u32_e32 vcc, v3, v2
	s_or_b64 s[0:1], vcc, s[0:1]
	v_mov_b32_e32 v3, v2
	s_andn2_b64 exec, exec, s[0:1]
	s_cbranch_execnz .LBB26_23
; %bb.24:
	s_or_b64 exec, exec, s[0:1]
	global_load_dword v3, v[0:1], off offset:4
	s_mov_b64 s[0:1], 0
.LBB26_25:                              ; =>This Inner Loop Header: Depth=1
	s_waitcnt vmcnt(0)
	v_pk_add_f16 v2, v69, v3
	global_atomic_cmpswap v2, v[0:1], v[2:3], off offset:4 glc
	s_waitcnt vmcnt(0)
	v_cmp_eq_u32_e32 vcc, v3, v2
	s_or_b64 s[0:1], vcc, s[0:1]
	v_mov_b32_e32 v3, v2
	s_andn2_b64 exec, exec, s[0:1]
	s_cbranch_execnz .LBB26_25
.LBB26_26:
	s_endpgm
	.section	.rodata,"a",@progbits
	.p2align	6, 0x0
	.amdhsa_kernel _ZN4vllm4gptq33gemm_half_q_half_gptq_8bit_kernelILb1ELi3EEEvPK6__halfPKjS6_S4_PS2_iiiibPKi
		.amdhsa_group_segment_fixed_size 768
		.amdhsa_private_segment_fixed_size 16
		.amdhsa_kernarg_size 72
		.amdhsa_user_sgpr_count 6
		.amdhsa_user_sgpr_private_segment_buffer 1
		.amdhsa_user_sgpr_dispatch_ptr 0
		.amdhsa_user_sgpr_queue_ptr 0
		.amdhsa_user_sgpr_kernarg_segment_ptr 1
		.amdhsa_user_sgpr_dispatch_id 0
		.amdhsa_user_sgpr_flat_scratch_init 0
		.amdhsa_user_sgpr_kernarg_preload_length 0
		.amdhsa_user_sgpr_kernarg_preload_offset 0
		.amdhsa_user_sgpr_private_segment_size 0
		.amdhsa_uses_dynamic_stack 0
		.amdhsa_system_sgpr_private_segment_wavefront_offset 1
		.amdhsa_system_sgpr_workgroup_id_x 1
		.amdhsa_system_sgpr_workgroup_id_y 1
		.amdhsa_system_sgpr_workgroup_id_z 1
		.amdhsa_system_sgpr_workgroup_info 0
		.amdhsa_system_vgpr_workitem_id 0
		.amdhsa_next_free_vgpr 128
		.amdhsa_next_free_sgpr 32
		.amdhsa_accum_offset 128
		.amdhsa_reserve_vcc 1
		.amdhsa_reserve_flat_scratch 0
		.amdhsa_float_round_mode_32 0
		.amdhsa_float_round_mode_16_64 0
		.amdhsa_float_denorm_mode_32 3
		.amdhsa_float_denorm_mode_16_64 3
		.amdhsa_dx10_clamp 1
		.amdhsa_ieee_mode 1
		.amdhsa_fp16_overflow 0
		.amdhsa_tg_split 0
		.amdhsa_exception_fp_ieee_invalid_op 0
		.amdhsa_exception_fp_denorm_src 0
		.amdhsa_exception_fp_ieee_div_zero 0
		.amdhsa_exception_fp_ieee_overflow 0
		.amdhsa_exception_fp_ieee_underflow 0
		.amdhsa_exception_fp_ieee_inexact 0
		.amdhsa_exception_int_div_zero 0
	.end_amdhsa_kernel
	.section	.text._ZN4vllm4gptq33gemm_half_q_half_gptq_8bit_kernelILb1ELi3EEEvPK6__halfPKjS6_S4_PS2_iiiibPKi,"axG",@progbits,_ZN4vllm4gptq33gemm_half_q_half_gptq_8bit_kernelILb1ELi3EEEvPK6__halfPKjS6_S4_PS2_iiiibPKi,comdat
.Lfunc_end26:
	.size	_ZN4vllm4gptq33gemm_half_q_half_gptq_8bit_kernelILb1ELi3EEEvPK6__halfPKjS6_S4_PS2_iiiibPKi, .Lfunc_end26-_ZN4vllm4gptq33gemm_half_q_half_gptq_8bit_kernelILb1ELi3EEEvPK6__halfPKjS6_S4_PS2_iiiibPKi
                                        ; -- End function
	.section	.AMDGPU.csdata,"",@progbits
; Kernel info:
; codeLenInByte = 7624
; NumSgprs: 36
; NumVgprs: 128
; NumAgprs: 0
; TotalNumVgprs: 128
; ScratchSize: 16
; MemoryBound: 0
; FloatMode: 240
; IeeeMode: 1
; LDSByteSize: 768 bytes/workgroup (compile time only)
; SGPRBlocks: 4
; VGPRBlocks: 15
; NumSGPRsForWavesPerEU: 36
; NumVGPRsForWavesPerEU: 128
; AccumOffset: 128
; Occupancy: 4
; WaveLimiterHint : 0
; COMPUTE_PGM_RSRC2:SCRATCH_EN: 1
; COMPUTE_PGM_RSRC2:USER_SGPR: 6
; COMPUTE_PGM_RSRC2:TRAP_HANDLER: 0
; COMPUTE_PGM_RSRC2:TGID_X_EN: 1
; COMPUTE_PGM_RSRC2:TGID_Y_EN: 1
; COMPUTE_PGM_RSRC2:TGID_Z_EN: 1
; COMPUTE_PGM_RSRC2:TIDIG_COMP_CNT: 0
; COMPUTE_PGM_RSRC3_GFX90A:ACCUM_OFFSET: 31
; COMPUTE_PGM_RSRC3_GFX90A:TG_SPLIT: 0
	.section	.text._ZN4vllm4gptq33gemm_half_q_half_gptq_2bit_kernelILb1ELi4EEEvPK6__halfPKjS6_S4_PS2_iiiibPKi,"axG",@progbits,_ZN4vllm4gptq33gemm_half_q_half_gptq_2bit_kernelILb1ELi4EEEvPK6__halfPKjS6_S4_PS2_iiiibPKi,comdat
	.protected	_ZN4vllm4gptq33gemm_half_q_half_gptq_2bit_kernelILb1ELi4EEEvPK6__halfPKjS6_S4_PS2_iiiibPKi ; -- Begin function _ZN4vllm4gptq33gemm_half_q_half_gptq_2bit_kernelILb1ELi4EEEvPK6__halfPKjS6_S4_PS2_iiiibPKi
	.globl	_ZN4vllm4gptq33gemm_half_q_half_gptq_2bit_kernelILb1ELi4EEEvPK6__halfPKjS6_S4_PS2_iiiibPKi
	.p2align	8
	.type	_ZN4vllm4gptq33gemm_half_q_half_gptq_2bit_kernelILb1ELi4EEEvPK6__halfPKjS6_S4_PS2_iiiibPKi,@function
_ZN4vllm4gptq33gemm_half_q_half_gptq_2bit_kernelILb1ELi4EEEvPK6__halfPKjS6_S4_PS2_iiiibPKi: ; @_ZN4vllm4gptq33gemm_half_q_half_gptq_2bit_kernelILb1ELi4EEEvPK6__halfPKjS6_S4_PS2_iiiibPKi
; %bb.0:
	s_load_dwordx8 s[12:19], s[4:5], 0x8
	s_load_dwordx4 s[20:23], s[4:5], 0x2c
	s_lshl_b32 s24, s8, 7
	s_add_i32 s0, s24, 0x80
	v_cvt_f64_u32_e32 v[2:3], s0
	s_lshl_b32 s7, s7, 2
	s_waitcnt lgkmcnt(0)
	v_cvt_f64_i32_e32 v[4:5], s21
	v_min_f64 v[2:3], v[2:3], v[4:5]
	v_cvt_i32_f64_e32 v1, v[2:3]
	v_add_u32_e32 v2, s24, v0
	v_readfirstlane_b32 s25, v1
	v_cmp_lt_u32_e32 vcc, v2, v1
	s_and_saveexec_b64 s[2:3], vcc
	s_cbranch_execz .LBB27_10
; %bb.1:
	s_load_dwordx2 s[0:1], s[4:5], 0x40
	s_load_dwordx2 s[8:9], s[4:5], 0x0
	v_mov_b32_e32 v3, 0
	v_lshlrev_b64 v[4:5], 2, v[2:3]
	v_pk_mov_b32 v[6:7], v[2:3], v[2:3] op_sel:[0,1]
	s_waitcnt lgkmcnt(0)
	s_cmp_lg_u64 s[0:1], 0
	v_mov_b32_e32 v1, s1
	v_add_co_u32_e32 v4, vcc, s0, v4
	s_cselect_b64 s[4:5], -1, 0
	s_cmp_eq_u64 s[0:1], 0
	v_addc_co_u32_e32 v5, vcc, v1, v5, vcc
	s_cbranch_scc1 .LBB27_3
; %bb.2:
	global_load_dword v6, v[4:5], off
	s_waitcnt vmcnt(0)
	v_ashrrev_i32_e32 v7, 31, v6
.LBB27_3:
	s_mul_i32 s10, s7, s21
	s_ashr_i32 s11, s10, 31
	s_lshl_b64 s[0:1], s[10:11], 1
	s_add_u32 s0, s8, s0
	s_addc_u32 s1, s9, s1
	v_lshlrev_b64 v[6:7], 1, v[6:7]
	v_mov_b32_e32 v1, s1
	v_add_co_u32_e32 v6, vcc, s0, v6
	v_addc_co_u32_e32 v7, vcc, v1, v7, vcc
	global_load_ushort v6, v[6:7], off
	v_lshlrev_b32_e32 v1, 1, v0
	v_cndmask_b32_e64 v7, 0, 1, s[4:5]
	v_cmp_ne_u32_e64 s[0:1], 1, v7
	s_andn2_b64 vcc, exec, s[4:5]
	s_waitcnt vmcnt(0)
	ds_write_b16 v1, v6
	v_pk_mov_b32 v[6:7], v[2:3], v[2:3] op_sel:[0,1]
	s_cbranch_vccnz .LBB27_5
; %bb.4:
	global_load_dword v6, v[4:5], off
	s_waitcnt vmcnt(0)
	v_ashrrev_i32_e32 v7, 31, v6
.LBB27_5:
	s_add_i32 s4, s10, s21
	s_ashr_i32 s5, s4, 31
	s_lshl_b64 s[10:11], s[4:5], 1
	s_add_u32 s5, s8, s10
	s_addc_u32 s10, s9, s11
	v_lshlrev_b64 v[6:7], 1, v[6:7]
	v_mov_b32_e32 v8, s10
	v_add_co_u32_e32 v6, vcc, s5, v6
	v_addc_co_u32_e32 v7, vcc, v8, v7, vcc
	global_load_ushort v6, v[6:7], off
	s_and_b64 vcc, exec, s[0:1]
	s_waitcnt vmcnt(0)
	ds_write_b16 v1, v6 offset:256
	v_pk_mov_b32 v[6:7], v[2:3], v[2:3] op_sel:[0,1]
	s_cbranch_vccnz .LBB27_7
; %bb.6:
	global_load_dword v6, v[4:5], off
	s_waitcnt vmcnt(0)
	v_ashrrev_i32_e32 v7, 31, v6
.LBB27_7:
	s_add_i32 s4, s4, s21
	s_ashr_i32 s5, s4, 31
	s_lshl_b64 s[10:11], s[4:5], 1
	s_add_u32 s5, s8, s10
	s_addc_u32 s10, s9, s11
	v_lshlrev_b64 v[6:7], 1, v[6:7]
	v_mov_b32_e32 v8, s10
	v_add_co_u32_e32 v6, vcc, s5, v6
	v_addc_co_u32_e32 v7, vcc, v8, v7, vcc
	global_load_ushort v6, v[6:7], off
	s_and_b64 vcc, exec, s[0:1]
	s_waitcnt vmcnt(0)
	ds_write_b16 v1, v6 offset:512
	s_cbranch_vccnz .LBB27_9
; %bb.8:
	global_load_dword v2, v[4:5], off
	s_waitcnt vmcnt(0)
	v_ashrrev_i32_e32 v3, 31, v2
.LBB27_9:
	s_add_i32 s0, s4, s21
	s_ashr_i32 s1, s0, 31
	s_lshl_b64 s[0:1], s[0:1], 1
	s_add_u32 s0, s8, s0
	s_addc_u32 s1, s9, s1
	v_lshlrev_b64 v[2:3], 1, v[2:3]
	v_mov_b32_e32 v4, s1
	v_add_co_u32_e32 v2, vcc, s0, v2
	v_addc_co_u32_e32 v3, vcc, v4, v3, vcc
	global_load_ushort v2, v[2:3], off
	s_waitcnt vmcnt(0)
	ds_write_b16 v1, v2 offset:768
.LBB27_10:
	s_or_b64 exec, exec, s[2:3]
	v_lshlrev_b32_e32 v1, 2, v0
	v_lshl_add_u32 v2, s6, 9, v1
	v_cmp_gt_i32_e32 vcc, s20, v2
	s_and_saveexec_b64 s[0:1], vcc
	s_cbranch_execz .LBB27_32
; %bb.11:
	s_abs_i32 s0, s22
	v_cvt_f32_u32_e32 v1, s0
	s_mov_b32 s2, 0
	v_mov_b32_e32 v20, 0
	v_mov_b32_e32 v19, 0
	v_rcp_iflag_f32_e32 v1, v1
	v_mov_b32_e32 v17, 0
	v_mov_b32_e32 v16, 0
	s_cmp_ge_i32 s24, s25
	v_mul_f32_e32 v1, 0x4f7ffffe, v1
	v_cvt_u32_f32_e32 v1, v1
	v_mov_b32_e32 v15, 0
	v_mov_b32_e32 v14, 0
	;; [unrolled: 1-line block ×3, first 2 shown]
	v_readfirstlane_b32 s1, v1
	v_mov_b32_e32 v12, 0
	s_waitcnt lgkmcnt(0)
	s_barrier
	s_cbranch_scc1 .LBB27_16
; %bb.12:
	s_sub_i32 s6, 0, s0
	s_mul_i32 s6, s6, s1
	s_mul_hi_u32 s6, s1, s6
	s_abs_i32 s5, s21
	s_add_i32 s1, s1, s6
	s_ashr_i32 s3, s21, 31
	s_ashr_i32 s4, s22, 31
	s_mul_hi_u32 s1, s5, s1
	s_xor_b32 s3, s3, s4
	s_mul_i32 s4, s1, s0
	s_sub_i32 s4, s5, s4
	s_add_i32 s5, s1, 1
	s_sub_i32 s6, s4, s0
	s_cmp_ge_u32 s4, s0
	s_cselect_b32 s1, s5, s1
	s_cselect_b32 s4, s6, s4
	s_add_i32 s5, s1, 1
	s_cmp_ge_u32 s4, s0
	s_cselect_b32 s0, s5, s1
	s_xor_b32 s0, s0, s3
	s_sub_i32 s3, s0, s3
	v_cvt_f32_u32_e32 v1, s3
	s_bitcmp1_b32 s23, 0
	s_cselect_b64 s[0:1], -1, 0
	s_sub_i32 s4, 0, s3
	v_rcp_iflag_f32_e32 v1, v1
	s_xor_b64 s[0:1], s[0:1], -1
	v_ashrrev_i32_e32 v3, 31, v2
	v_lshrrev_b32_e32 v4, 28, v3
	v_mul_f32_e32 v1, 0x4f7ffffe, v1
	v_cvt_u32_f32_e32 v1, v1
	v_add_u32_e32 v4, v2, v4
	v_ashrrev_i32_e32 v18, 4, v4
	v_mov_b32_e32 v12, 0
	v_readfirstlane_b32 s5, v1
	s_mul_i32 s4, s4, s5
	s_mul_hi_u32 s4, s5, s4
	s_add_i32 s5, s5, s4
	s_mul_hi_u32 s4, s24, s5
	s_mul_i32 s5, s4, s3
	s_sub_i32 s5, s24, s5
	s_add_i32 s6, s4, 1
	s_sub_i32 s8, s5, s3
	s_cmp_ge_u32 s5, s3
	s_cselect_b32 s4, s6, s4
	s_cselect_b32 s5, s8, s5
	s_add_i32 s6, s4, 1
	s_cmp_ge_u32 s5, s3
	s_cselect_b32 s4, s6, s4
	s_mul_i32 s5, s4, s20
	s_ashr_i32 s6, s5, 31
	s_lshr_b32 s6, s6, 28
	v_add_u32_e32 v4, s5, v2
	s_add_i32 s5, s5, s6
	s_ashr_i32 s5, s5, 4
	v_add_u32_e32 v6, s5, v18
	v_ashrrev_i32_e32 v7, 31, v6
	v_lshlrev_b64 v[6:7], 2, v[6:7]
	v_ashrrev_i32_e32 v5, 31, v4
	v_mov_b32_e32 v1, s15
	v_add_co_u32_e32 v6, vcc, s14, v6
	v_lshlrev_b64 v[4:5], 1, v[4:5]
	v_addc_co_u32_e32 v7, vcc, v1, v7, vcc
	global_load_dword v6, v[6:7], off
	v_mov_b32_e32 v1, s17
	v_add_co_u32_e32 v4, vcc, s16, v4
	v_addc_co_u32_e32 v5, vcc, v1, v5, vcc
	global_load_dwordx2 v[4:5], v[4:5], off
	v_lshlrev_b32_e32 v7, 3, v0
	v_lshlrev_b64 v[0:1], 2, v[2:3]
	v_cndmask_b32_e64 v3, 0, 1, s[0:1]
	s_lshr_b32 s0, s24, 4
	s_mul_i32 s0, s0, s20
	s_ashr_i32 s1, s0, 31
	s_add_i32 s10, s3, s24
	s_ashr_i32 s21, s20, 31
	s_lshl_b64 s[0:1], s[0:1], 2
	s_add_u32 s11, s12, s0
	s_addc_u32 s12, s13, s1
	v_mov_b32_e32 v8, s12
	v_add_co_u32_e32 v0, vcc, s11, v0
	v_addc_co_u32_e32 v1, vcc, v8, v1, vcc
	v_and_b32_e32 v21, 24, v7
	v_add_co_u32_e32 v0, vcc, 8, v0
	s_movk_i32 s5, 0x3400
	s_movk_i32 s6, 0x2c00
	s_movk_i32 s8, 0x2400
	s_mov_b32 s9, 0x7060302
	v_mov_b32_e32 v13, 0
	v_mov_b32_e32 v14, 0
	;; [unrolled: 1-line block ×6, first 2 shown]
	s_lshl_b64 s[0:1], s[20:21], 2
	v_addc_co_u32_e32 v1, vcc, 0, v1, vcc
	v_mov_b32_e32 v20, 0
	s_waitcnt vmcnt(1)
	v_lshrrev_b32_e32 v7, v7, v6
	v_bfe_u32 v22, v6, v21, 2
	v_bfe_u32 v23, v7, 2, 2
	;; [unrolled: 1-line block ×4, first 2 shown]
	s_branch .LBB27_14
.LBB27_13:                              ;   in Loop: Header=BB27_14 Depth=1
	global_load_dwordx4 v[8:11], v[0:1], off offset:-8
	v_add_u32_e32 v6, v22, v3
	v_add_u32_e32 v26, v24, v3
	;; [unrolled: 1-line block ×3, first 2 shown]
	v_or_b32_e32 v34, 0xffffe400, v6
	v_cvt_f32_i32_e32 v6, v6
	v_or_b32_e32 v46, 0xffffe400, v26
	v_cvt_f32_i32_e32 v26, v26
	;; [unrolled: 2-line block ×3, first 2 shown]
	v_add_u32_e32 v7, v23, v3
	v_or_b32_e32 v35, 0xffffe400, v7
	v_cvt_f32_i32_e32 v7, v7
	v_cvt_f16_f32_e32 v6, v6
	v_cvt_f16_f32_e32 v26, v26
	;; [unrolled: 1-line block ×4, first 2 shown]
	v_sub_f16_e32 v36, 0xdc00, v6
	v_sub_f16_e32 v37, 0xd400, v6
	;; [unrolled: 1-line block ×12, first 2 shown]
	s_add_i32 s24, s24, 16
	v_add_co_u32_e32 v0, vcc, s0, v0
	s_waitcnt vmcnt(0)
	v_and_b32_e32 v26, 0x30003, v8
	v_and_b32_e32 v27, 0xc000c, v8
	v_and_b32_e32 v28, 0x300030, v8
	v_and_b32_e32 v29, 0xc000c0, v8
	v_lshrrev_b32_e32 v8, 8, v8
	v_and_b32_e32 v30, 0x30003, v9
	v_and_b32_e32 v31, 0xc000c, v9
	;; [unrolled: 1-line block ×4, first 2 shown]
	v_lshrrev_b32_e32 v9, 8, v9
	v_and_b32_e32 v38, 0x30003, v10
	v_and_b32_e32 v39, 0xc000c, v10
	;; [unrolled: 1-line block ×9, first 2 shown]
	v_or_b32_e32 v28, 0x64006400, v28
	v_or_b32_e32 v61, 0x64006400, v38
	v_or_b32_e32 v62, 0x64006400, v39
	v_or_b32_e32 v38, 0x64006400, v41
	v_or_b32_e32 v39, 0x64006400, v45
	v_or_b32_e32 v45, 0x64006400, v50
	v_or_b32_e32 v9, 0x64006400, v9
	v_or_b32_e32 v26, 0x64006400, v26
	v_or_b32_e32 v27, 0x64006400, v27
	v_and_b32_e32 v8, 0xc000c0, v8
	v_or_b32_e32 v51, 0x64006400, v30
	v_or_b32_e32 v52, 0x64006400, v31
	v_pk_fma_f16 v30, v28, s6, v37 op_sel_hi:[1,0,0]
	v_or_b32_e32 v50, 0x64006400, v58
	v_or_b32_e32 v58, 0x64006400, v59
	v_pk_add_f16 v41, v34, v38 op_sel_hi:[0,1]
	v_pk_fma_f16 v38, v39, s5, v36 op_sel_hi:[1,0,0]
	v_pk_fma_f16 v39, v45, s6, v37 op_sel_hi:[1,0,0]
	;; [unrolled: 1-line block ×3, first 2 shown]
	v_lshrrev_b32_e32 v9, 8, v10
	v_or_b32_e32 v29, 0x64006400, v29
	v_or_b32_e32 v53, 0x64006400, v32
	;; [unrolled: 1-line block ×4, first 2 shown]
	v_pk_add_f16 v32, v34, v26 op_sel_hi:[0,1]
	v_pk_fma_f16 v33, v27, s5, v36 op_sel_hi:[1,0,0]
	v_pk_add_f16 v26, v35, v51 op_sel_hi:[0,1]
	v_pk_fma_f16 v27, v52, s5, v42 op_sel_hi:[1,0,0]
	;; [unrolled: 2-line block ×3, first 2 shown]
	v_and_b32_e32 v42, 0xc000c, v9
	v_and_b32_e32 v44, 0x300030, v10
	v_pk_fma_f16 v31, v29, s8, v40 op_sel_hi:[1,0,0]
	v_pk_fma_f16 v40, v8, s8, v40 op_sel_hi:[1,0,0]
	v_and_b32_e32 v8, 0xc000c0, v10
	v_and_b32_e32 v10, 0x30003, v9
	v_or_b32_e32 v50, 0x64006400, v42
	v_and_b32_e32 v42, 0x300030, v9
	v_and_b32_e32 v9, 0xc000c0, v9
	v_pk_fma_f16 v29, v57, s8, v7 op_sel_hi:[1,0,0]
	v_or_b32_e32 v7, 0x64006400, v44
	v_or_b32_e32 v8, 0x64006400, v8
	;; [unrolled: 1-line block ×6, first 2 shown]
	v_pk_add_f16 v42, v46, v61 op_sel_hi:[0,1]
	v_pk_fma_f16 v44, v7, s6, v48 op_sel_hi:[1,0,0]
	v_pk_fma_f16 v45, v8, s8, v49 op_sel_hi:[1,0,0]
	v_pk_add_f16 v46, v46, v10 op_sel_hi:[0,1]
	v_pk_fma_f16 v49, v9, s8, v49 op_sel_hi:[1,0,0]
	v_and_b32_e32 v7, 0x30003, v11
	v_and_b32_e32 v8, 0xc000c, v11
	v_and_b32_e32 v9, 0x300030, v11
	v_and_b32_e32 v10, 0xc000c0, v11
	v_lshrrev_b32_e32 v11, 8, v11
	v_pk_fma_f16 v28, v53, s6, v43 op_sel_hi:[1,0,0]
	v_pk_fma_f16 v36, v59, s6, v43 op_sel_hi:[1,0,0]
	;; [unrolled: 1-line block ×4, first 2 shown]
	v_and_b32_e32 v50, 0x30003, v11
	v_or_b32_e32 v57, 0x64006400, v50
	v_and_b32_e32 v50, 0xc000c, v11
	v_or_b32_e32 v8, 0x64006400, v8
	v_or_b32_e32 v58, 0x64006400, v50
	v_pk_fma_f16 v48, v51, s6, v48 op_sel_hi:[1,0,0]
	v_pk_fma_f16 v51, v8, s5, v55 op_sel_hi:[1,0,0]
	;; [unrolled: 1-line block ×3, first 2 shown]
	v_mov_b32_e32 v58, s2
	ds_read2_b32 v[60:61], v58 offset1:1
	v_and_b32_e32 v50, 0x300030, v11
	v_and_b32_e32 v11, 0xc000c0, v11
	v_or_b32_e32 v7, 0x64006400, v7
	v_or_b32_e32 v9, 0x64006400, v9
	;; [unrolled: 1-line block ×5, first 2 shown]
	v_pk_add_f16 v50, v54, v7 op_sel_hi:[0,1]
	v_pk_fma_f16 v52, v9, s6, v56 op_sel_hi:[1,0,0]
	v_pk_fma_f16 v53, v10, s8, v6 op_sel_hi:[1,0,0]
	v_pk_add_f16 v54, v54, v57 op_sel_hi:[0,1]
	v_pk_fma_f16 v57, v11, s8, v6 op_sel_hi:[1,0,0]
	ds_read2_b32 v[10:11], v58 offset0:2 offset1:3
	ds_read2_b32 v[8:9], v58 offset0:4 offset1:5
	;; [unrolled: 1-line block ×3, first 2 shown]
	v_pk_fma_f16 v56, v59, s6, v56 op_sel_hi:[1,0,0]
	s_waitcnt lgkmcnt(3)
	v_pk_fma_f16 v59, v32, v60, 0
	v_pk_fma_f16 v62, v26, v60, 0
	v_pk_fma_f16 v59, v33, v61, v59
	v_pk_fma_f16 v62, v27, v61, v62
	s_waitcnt lgkmcnt(2)
	v_pk_fma_f16 v59, v30, v10, v59
	v_pk_fma_f16 v62, v28, v10, v62
	v_pk_fma_f16 v59, v31, v11, v59
	v_pk_fma_f16 v62, v29, v11, v62
	;; [unrolled: 5-line block ×4, first 2 shown]
	v_pack_b32_f16 v63, v59, v62
	v_perm_b32 v59, v62, v59, s9
	v_pk_add_f16 v59, v63, v59
	v_pk_fma_f16 v20, v59, v4, v20
	v_pk_fma_f16 v59, v42, v60, 0
	;; [unrolled: 1-line block ×17, first 2 shown]
	v_pack_b32_f16 v7, v59, v6
	v_perm_b32 v6, v6, v59, s9
	v_pk_add_f16 v8, v7, v6
	ds_read2_b32 v[6:7], v58 offset0:64 offset1:65
	v_pk_fma_f16 v19, v8, v5, v19
	ds_read2_b32 v[8:9], v58 offset0:66 offset1:67
	ds_read2_b32 v[10:11], v58 offset0:68 offset1:69
	ds_read2_b32 v[60:61], v58 offset0:70 offset1:71
	s_add_i32 s2, s2, 32
	s_cmp_ge_i32 s24, s25
	s_waitcnt lgkmcnt(3)
	v_pk_fma_f16 v59, v32, v6, 0
	v_pk_fma_f16 v62, v26, v6, 0
	v_pk_fma_f16 v59, v33, v7, v59
	v_pk_fma_f16 v62, v27, v7, v62
	s_waitcnt lgkmcnt(2)
	v_pk_fma_f16 v59, v30, v8, v59
	v_pk_fma_f16 v62, v28, v8, v62
	v_pk_fma_f16 v59, v31, v9, v59
	v_pk_fma_f16 v62, v29, v9, v62
	s_waitcnt lgkmcnt(1)
	v_pk_fma_f16 v59, v41, v10, v59
	v_pk_fma_f16 v62, v34, v10, v62
	v_pk_fma_f16 v59, v38, v11, v59
	v_pk_fma_f16 v62, v35, v11, v62
	s_waitcnt lgkmcnt(0)
	v_pk_fma_f16 v59, v39, v60, v59
	v_pk_fma_f16 v62, v36, v60, v62
	v_pk_fma_f16 v59, v40, v61, v59
	v_pk_fma_f16 v62, v37, v61, v62
	v_pack_b32_f16 v63, v59, v62
	v_perm_b32 v59, v62, v59, s9
	v_pk_add_f16 v59, v63, v59
	v_pk_fma_f16 v17, v59, v4, v17
	v_pk_fma_f16 v59, v42, v6, 0
	;; [unrolled: 1-line block ×17, first 2 shown]
	v_pack_b32_f16 v7, v59, v6
	v_perm_b32 v6, v6, v59, s9
	v_pk_add_f16 v8, v7, v6
	ds_read2_b32 v[6:7], v58 offset0:128 offset1:129
	v_pk_fma_f16 v16, v8, v5, v16
	ds_read2_b32 v[8:9], v58 offset0:130 offset1:131
	ds_read2_b32 v[10:11], v58 offset0:132 offset1:133
	;; [unrolled: 1-line block ×3, first 2 shown]
	s_waitcnt lgkmcnt(3)
	v_pk_fma_f16 v59, v32, v6, 0
	v_pk_fma_f16 v62, v26, v6, 0
	v_pk_fma_f16 v59, v33, v7, v59
	v_pk_fma_f16 v62, v27, v7, v62
	s_waitcnt lgkmcnt(2)
	v_pk_fma_f16 v59, v30, v8, v59
	v_pk_fma_f16 v62, v28, v8, v62
	v_pk_fma_f16 v59, v31, v9, v59
	v_pk_fma_f16 v62, v29, v9, v62
	;; [unrolled: 5-line block ×4, first 2 shown]
	v_pack_b32_f16 v63, v59, v62
	v_perm_b32 v59, v62, v59, s9
	v_pk_add_f16 v59, v63, v59
	v_pk_fma_f16 v15, v59, v4, v15
	v_pk_fma_f16 v59, v42, v6, 0
	;; [unrolled: 1-line block ×17, first 2 shown]
	v_pack_b32_f16 v7, v59, v6
	v_perm_b32 v6, v6, v59, s9
	v_pk_add_f16 v8, v7, v6
	ds_read2_b32 v[6:7], v58 offset0:192 offset1:193
	v_pk_fma_f16 v14, v8, v5, v14
	ds_read2_b32 v[8:9], v58 offset0:194 offset1:195
	ds_read2_b32 v[10:11], v58 offset0:196 offset1:197
	;; [unrolled: 1-line block ×3, first 2 shown]
	s_waitcnt lgkmcnt(3)
	v_pk_fma_f16 v32, v32, v6, 0
	v_pk_fma_f16 v26, v26, v6, 0
	v_pk_fma_f16 v32, v33, v7, v32
	v_pk_fma_f16 v26, v27, v7, v26
	s_waitcnt lgkmcnt(2)
	v_pk_fma_f16 v30, v30, v8, v32
	v_pk_fma_f16 v26, v28, v8, v26
	v_pk_fma_f16 v30, v31, v9, v30
	v_pk_fma_f16 v26, v29, v9, v26
	;; [unrolled: 5-line block ×4, first 2 shown]
	v_pack_b32_f16 v27, v30, v26
	v_perm_b32 v26, v26, v30, s9
	v_pk_add_f16 v26, v27, v26
	v_pk_fma_f16 v13, v26, v4, v13
	v_pk_fma_f16 v26, v42, v6, 0
	;; [unrolled: 1-line block ×17, first 2 shown]
	v_pack_b32_f16 v7, v26, v6
	v_perm_b32 v6, v6, v26, s9
	v_pk_add_f16 v6, v7, v6
	v_pk_fma_f16 v12, v6, v5, v12
	v_mov_b32_e32 v6, s1
	v_addc_co_u32_e32 v1, vcc, v1, v6, vcc
	s_cbranch_scc1 .LBB27_16
.LBB27_14:                              ; =>This Inner Loop Header: Depth=1
	s_cmp_lg_u32 s24, s10
	s_cbranch_scc1 .LBB27_13
; %bb.15:                               ;   in Loop: Header=BB27_14 Depth=1
	s_add_i32 s4, s4, 1
	s_mul_i32 s11, s4, s20
	s_ashr_i32 s12, s11, 31
	s_lshr_b32 s12, s12, 28
	s_add_i32 s12, s11, s12
	s_ashr_i32 s12, s12, 4
	s_waitcnt vmcnt(0)
	v_add_u32_e32 v4, s12, v18
	v_ashrrev_i32_e32 v5, 31, v4
	v_lshlrev_b64 v[4:5], 2, v[4:5]
	v_mov_b32_e32 v6, s15
	v_add_co_u32_e32 v4, vcc, s14, v4
	v_addc_co_u32_e32 v5, vcc, v6, v5, vcc
	global_load_dword v6, v[4:5], off
	v_add_u32_e32 v4, s11, v2
	v_ashrrev_i32_e32 v5, 31, v4
	v_lshlrev_b64 v[4:5], 1, v[4:5]
	v_mov_b32_e32 v7, s17
	v_add_co_u32_e32 v4, vcc, s16, v4
	v_addc_co_u32_e32 v5, vcc, v7, v5, vcc
	global_load_dwordx2 v[4:5], v[4:5], off
	s_add_i32 s10, s10, s3
	s_waitcnt vmcnt(1)
	v_lshrrev_b32_e32 v7, v21, v6
	v_bfe_u32 v22, v6, v21, 2
	v_bfe_u32 v23, v7, 2, 2
	;; [unrolled: 1-line block ×4, first 2 shown]
	s_branch .LBB27_13
.LBB27_16:
	s_mul_i32 s7, s7, s20
	v_add_u32_e32 v0, s7, v2
	v_ashrrev_i32_e32 v1, 31, v0
	v_lshlrev_b64 v[2:3], 1, v[0:1]
	v_mov_b32_e32 v1, s19
	v_add_co_u32_e32 v2, vcc, s18, v2
	v_addc_co_u32_e32 v3, vcc, v1, v3, vcc
	global_load_dword v5, v[2:3], off
	s_mov_b64 s[0:1], 0
.LBB27_17:                              ; =>This Inner Loop Header: Depth=1
	s_waitcnt vmcnt(0)
	v_pk_add_f16 v4, v20, v5
	global_atomic_cmpswap v1, v[2:3], v[4:5], off glc
	s_waitcnt vmcnt(0)
	v_cmp_eq_u32_e32 vcc, v5, v1
	s_or_b64 s[0:1], vcc, s[0:1]
	v_mov_b32_e32 v5, v1
	s_andn2_b64 exec, exec, s[0:1]
	s_cbranch_execnz .LBB27_17
; %bb.18:
	s_or_b64 exec, exec, s[0:1]
	global_load_dword v5, v[2:3], off offset:4
	s_mov_b64 s[0:1], 0
.LBB27_19:                              ; =>This Inner Loop Header: Depth=1
	s_waitcnt vmcnt(0)
	v_pk_add_f16 v4, v19, v5
	global_atomic_cmpswap v1, v[2:3], v[4:5], off offset:4 glc
	s_waitcnt vmcnt(0)
	v_cmp_eq_u32_e32 vcc, v5, v1
	s_or_b64 s[0:1], vcc, s[0:1]
	v_mov_b32_e32 v5, v1
	s_andn2_b64 exec, exec, s[0:1]
	s_cbranch_execnz .LBB27_19
; %bb.20:
	s_or_b64 exec, exec, s[0:1]
	v_add_u32_e32 v0, s20, v0
	v_ashrrev_i32_e32 v1, 31, v0
	v_lshlrev_b64 v[2:3], 1, v[0:1]
	v_mov_b32_e32 v1, s19
	v_add_co_u32_e32 v2, vcc, s18, v2
	v_addc_co_u32_e32 v3, vcc, v1, v3, vcc
	global_load_dword v5, v[2:3], off
	s_mov_b64 s[0:1], 0
.LBB27_21:                              ; =>This Inner Loop Header: Depth=1
	s_waitcnt vmcnt(0)
	v_pk_add_f16 v4, v17, v5
	global_atomic_cmpswap v1, v[2:3], v[4:5], off glc
	s_waitcnt vmcnt(0)
	v_cmp_eq_u32_e32 vcc, v5, v1
	s_or_b64 s[0:1], vcc, s[0:1]
	v_mov_b32_e32 v5, v1
	s_andn2_b64 exec, exec, s[0:1]
	s_cbranch_execnz .LBB27_21
; %bb.22:
	s_or_b64 exec, exec, s[0:1]
	global_load_dword v5, v[2:3], off offset:4
	s_mov_b64 s[0:1], 0
.LBB27_23:                              ; =>This Inner Loop Header: Depth=1
	s_waitcnt vmcnt(0)
	v_pk_add_f16 v4, v16, v5
	global_atomic_cmpswap v1, v[2:3], v[4:5], off offset:4 glc
	s_waitcnt vmcnt(0)
	v_cmp_eq_u32_e32 vcc, v5, v1
	s_or_b64 s[0:1], vcc, s[0:1]
	v_mov_b32_e32 v5, v1
	s_andn2_b64 exec, exec, s[0:1]
	s_cbranch_execnz .LBB27_23
; %bb.24:
	s_or_b64 exec, exec, s[0:1]
	v_add_u32_e32 v0, s20, v0
	v_ashrrev_i32_e32 v1, 31, v0
	v_lshlrev_b64 v[2:3], 1, v[0:1]
	v_mov_b32_e32 v1, s19
	v_add_co_u32_e32 v2, vcc, s18, v2
	v_addc_co_u32_e32 v3, vcc, v1, v3, vcc
	global_load_dword v5, v[2:3], off
	s_mov_b64 s[0:1], 0
.LBB27_25:                              ; =>This Inner Loop Header: Depth=1
	s_waitcnt vmcnt(0)
	v_pk_add_f16 v4, v15, v5
	global_atomic_cmpswap v1, v[2:3], v[4:5], off glc
	s_waitcnt vmcnt(0)
	v_cmp_eq_u32_e32 vcc, v5, v1
	s_or_b64 s[0:1], vcc, s[0:1]
	v_mov_b32_e32 v5, v1
	s_andn2_b64 exec, exec, s[0:1]
	s_cbranch_execnz .LBB27_25
; %bb.26:
	s_or_b64 exec, exec, s[0:1]
	global_load_dword v5, v[2:3], off offset:4
	s_mov_b64 s[0:1], 0
.LBB27_27:                              ; =>This Inner Loop Header: Depth=1
	s_waitcnt vmcnt(0)
	v_pk_add_f16 v4, v14, v5
	global_atomic_cmpswap v1, v[2:3], v[4:5], off offset:4 glc
	s_waitcnt vmcnt(0)
	v_cmp_eq_u32_e32 vcc, v5, v1
	s_or_b64 s[0:1], vcc, s[0:1]
	v_mov_b32_e32 v5, v1
	s_andn2_b64 exec, exec, s[0:1]
	s_cbranch_execnz .LBB27_27
; %bb.28:
	s_or_b64 exec, exec, s[0:1]
	v_add_u32_e32 v0, s20, v0
	v_ashrrev_i32_e32 v1, 31, v0
	v_lshlrev_b64 v[0:1], 1, v[0:1]
	v_mov_b32_e32 v2, s19
	v_add_co_u32_e32 v0, vcc, s18, v0
	v_addc_co_u32_e32 v1, vcc, v2, v1, vcc
	global_load_dword v3, v[0:1], off
	s_mov_b64 s[0:1], 0
.LBB27_29:                              ; =>This Inner Loop Header: Depth=1
	s_waitcnt vmcnt(0)
	v_pk_add_f16 v2, v13, v3
	global_atomic_cmpswap v2, v[0:1], v[2:3], off glc
	s_waitcnt vmcnt(0)
	v_cmp_eq_u32_e32 vcc, v3, v2
	s_or_b64 s[0:1], vcc, s[0:1]
	v_mov_b32_e32 v3, v2
	s_andn2_b64 exec, exec, s[0:1]
	s_cbranch_execnz .LBB27_29
; %bb.30:
	s_or_b64 exec, exec, s[0:1]
	global_load_dword v3, v[0:1], off offset:4
	s_mov_b64 s[0:1], 0
.LBB27_31:                              ; =>This Inner Loop Header: Depth=1
	s_waitcnt vmcnt(0)
	v_pk_add_f16 v2, v12, v3
	global_atomic_cmpswap v2, v[0:1], v[2:3], off offset:4 glc
	s_waitcnt vmcnt(0)
	v_cmp_eq_u32_e32 vcc, v3, v2
	s_or_b64 s[0:1], vcc, s[0:1]
	v_mov_b32_e32 v3, v2
	s_andn2_b64 exec, exec, s[0:1]
	s_cbranch_execnz .LBB27_31
.LBB27_32:
	s_endpgm
	.section	.rodata,"a",@progbits
	.p2align	6, 0x0
	.amdhsa_kernel _ZN4vllm4gptq33gemm_half_q_half_gptq_2bit_kernelILb1ELi4EEEvPK6__halfPKjS6_S4_PS2_iiiibPKi
		.amdhsa_group_segment_fixed_size 1024
		.amdhsa_private_segment_fixed_size 0
		.amdhsa_kernarg_size 72
		.amdhsa_user_sgpr_count 6
		.amdhsa_user_sgpr_private_segment_buffer 1
		.amdhsa_user_sgpr_dispatch_ptr 0
		.amdhsa_user_sgpr_queue_ptr 0
		.amdhsa_user_sgpr_kernarg_segment_ptr 1
		.amdhsa_user_sgpr_dispatch_id 0
		.amdhsa_user_sgpr_flat_scratch_init 0
		.amdhsa_user_sgpr_kernarg_preload_length 0
		.amdhsa_user_sgpr_kernarg_preload_offset 0
		.amdhsa_user_sgpr_private_segment_size 0
		.amdhsa_uses_dynamic_stack 0
		.amdhsa_system_sgpr_private_segment_wavefront_offset 0
		.amdhsa_system_sgpr_workgroup_id_x 1
		.amdhsa_system_sgpr_workgroup_id_y 1
		.amdhsa_system_sgpr_workgroup_id_z 1
		.amdhsa_system_sgpr_workgroup_info 0
		.amdhsa_system_vgpr_workitem_id 0
		.amdhsa_next_free_vgpr 64
		.amdhsa_next_free_sgpr 26
		.amdhsa_accum_offset 64
		.amdhsa_reserve_vcc 1
		.amdhsa_reserve_flat_scratch 0
		.amdhsa_float_round_mode_32 0
		.amdhsa_float_round_mode_16_64 0
		.amdhsa_float_denorm_mode_32 3
		.amdhsa_float_denorm_mode_16_64 3
		.amdhsa_dx10_clamp 1
		.amdhsa_ieee_mode 1
		.amdhsa_fp16_overflow 0
		.amdhsa_tg_split 0
		.amdhsa_exception_fp_ieee_invalid_op 0
		.amdhsa_exception_fp_denorm_src 0
		.amdhsa_exception_fp_ieee_div_zero 0
		.amdhsa_exception_fp_ieee_overflow 0
		.amdhsa_exception_fp_ieee_underflow 0
		.amdhsa_exception_fp_ieee_inexact 0
		.amdhsa_exception_int_div_zero 0
	.end_amdhsa_kernel
	.section	.text._ZN4vllm4gptq33gemm_half_q_half_gptq_2bit_kernelILb1ELi4EEEvPK6__halfPKjS6_S4_PS2_iiiibPKi,"axG",@progbits,_ZN4vllm4gptq33gemm_half_q_half_gptq_2bit_kernelILb1ELi4EEEvPK6__halfPKjS6_S4_PS2_iiiibPKi,comdat
.Lfunc_end27:
	.size	_ZN4vllm4gptq33gemm_half_q_half_gptq_2bit_kernelILb1ELi4EEEvPK6__halfPKjS6_S4_PS2_iiiibPKi, .Lfunc_end27-_ZN4vllm4gptq33gemm_half_q_half_gptq_2bit_kernelILb1ELi4EEEvPK6__halfPKjS6_S4_PS2_iiiibPKi
                                        ; -- End function
	.section	.AMDGPU.csdata,"",@progbits
; Kernel info:
; codeLenInByte = 4308
; NumSgprs: 30
; NumVgprs: 64
; NumAgprs: 0
; TotalNumVgprs: 64
; ScratchSize: 0
; MemoryBound: 0
; FloatMode: 240
; IeeeMode: 1
; LDSByteSize: 1024 bytes/workgroup (compile time only)
; SGPRBlocks: 3
; VGPRBlocks: 7
; NumSGPRsForWavesPerEU: 30
; NumVGPRsForWavesPerEU: 64
; AccumOffset: 64
; Occupancy: 8
; WaveLimiterHint : 0
; COMPUTE_PGM_RSRC2:SCRATCH_EN: 0
; COMPUTE_PGM_RSRC2:USER_SGPR: 6
; COMPUTE_PGM_RSRC2:TRAP_HANDLER: 0
; COMPUTE_PGM_RSRC2:TGID_X_EN: 1
; COMPUTE_PGM_RSRC2:TGID_Y_EN: 1
; COMPUTE_PGM_RSRC2:TGID_Z_EN: 1
; COMPUTE_PGM_RSRC2:TIDIG_COMP_CNT: 0
; COMPUTE_PGM_RSRC3_GFX90A:ACCUM_OFFSET: 15
; COMPUTE_PGM_RSRC3_GFX90A:TG_SPLIT: 0
	.section	.text._ZN4vllm4gptq33gemm_half_q_half_gptq_3bit_kernelILb1ELi4EEEvPK6__halfPKjS6_S4_PS2_iiiibPKi,"axG",@progbits,_ZN4vllm4gptq33gemm_half_q_half_gptq_3bit_kernelILb1ELi4EEEvPK6__halfPKjS6_S4_PS2_iiiibPKi,comdat
	.protected	_ZN4vllm4gptq33gemm_half_q_half_gptq_3bit_kernelILb1ELi4EEEvPK6__halfPKjS6_S4_PS2_iiiibPKi ; -- Begin function _ZN4vllm4gptq33gemm_half_q_half_gptq_3bit_kernelILb1ELi4EEEvPK6__halfPKjS6_S4_PS2_iiiibPKi
	.globl	_ZN4vllm4gptq33gemm_half_q_half_gptq_3bit_kernelILb1ELi4EEEvPK6__halfPKjS6_S4_PS2_iiiibPKi
	.p2align	8
	.type	_ZN4vllm4gptq33gemm_half_q_half_gptq_3bit_kernelILb1ELi4EEEvPK6__halfPKjS6_S4_PS2_iiiibPKi,@function
_ZN4vllm4gptq33gemm_half_q_half_gptq_3bit_kernelILb1ELi4EEEvPK6__halfPKjS6_S4_PS2_iiiibPKi: ; @_ZN4vllm4gptq33gemm_half_q_half_gptq_3bit_kernelILb1ELi4EEEvPK6__halfPKjS6_S4_PS2_iiiibPKi
; %bb.0:
	s_load_dwordx8 s[12:19], s[4:5], 0x8
	s_load_dwordx4 s[20:23], s[4:5], 0x2c
	s_lshl_b32 s25, s8, 7
	s_add_i32 s0, s25, 0x80
	v_cvt_f64_u32_e32 v[2:3], s0
	s_lshl_b32 s24, s7, 2
	s_waitcnt lgkmcnt(0)
	v_cvt_f64_i32_e32 v[4:5], s21
	v_min_f64 v[2:3], v[2:3], v[4:5]
	v_cvt_i32_f64_e32 v1, v[2:3]
	v_add_u32_e32 v2, s25, v0
	v_readfirstlane_b32 s26, v1
	v_cmp_lt_u32_e32 vcc, v2, v1
	s_and_saveexec_b64 s[2:3], vcc
	s_cbranch_execz .LBB28_10
; %bb.1:
	s_load_dwordx2 s[0:1], s[4:5], 0x40
	s_load_dwordx2 s[8:9], s[4:5], 0x0
	v_mov_b32_e32 v3, 0
	v_lshlrev_b64 v[4:5], 2, v[2:3]
	v_pk_mov_b32 v[6:7], v[2:3], v[2:3] op_sel:[0,1]
	s_waitcnt lgkmcnt(0)
	s_cmp_lg_u64 s[0:1], 0
	v_mov_b32_e32 v1, s1
	v_add_co_u32_e32 v4, vcc, s0, v4
	s_cselect_b64 s[4:5], -1, 0
	s_cmp_eq_u64 s[0:1], 0
	v_addc_co_u32_e32 v5, vcc, v1, v5, vcc
	s_cbranch_scc1 .LBB28_3
; %bb.2:
	global_load_dword v6, v[4:5], off
	s_waitcnt vmcnt(0)
	v_ashrrev_i32_e32 v7, 31, v6
.LBB28_3:
	s_mul_i32 s10, s24, s21
	s_ashr_i32 s11, s10, 31
	s_lshl_b64 s[0:1], s[10:11], 1
	s_add_u32 s0, s8, s0
	s_addc_u32 s1, s9, s1
	v_lshlrev_b64 v[6:7], 1, v[6:7]
	v_mov_b32_e32 v1, s1
	v_add_co_u32_e32 v6, vcc, s0, v6
	v_addc_co_u32_e32 v7, vcc, v1, v7, vcc
	global_load_ushort v6, v[6:7], off
	v_lshlrev_b32_e32 v1, 1, v0
	v_cndmask_b32_e64 v7, 0, 1, s[4:5]
	v_cmp_ne_u32_e64 s[0:1], 1, v7
	s_andn2_b64 vcc, exec, s[4:5]
	s_waitcnt vmcnt(0)
	ds_write_b16 v1, v6
	v_pk_mov_b32 v[6:7], v[2:3], v[2:3] op_sel:[0,1]
	s_cbranch_vccnz .LBB28_5
; %bb.4:
	global_load_dword v6, v[4:5], off
	s_waitcnt vmcnt(0)
	v_ashrrev_i32_e32 v7, 31, v6
.LBB28_5:
	s_add_i32 s4, s10, s21
	s_ashr_i32 s5, s4, 31
	s_lshl_b64 s[10:11], s[4:5], 1
	s_add_u32 s5, s8, s10
	s_addc_u32 s7, s9, s11
	v_lshlrev_b64 v[6:7], 1, v[6:7]
	v_mov_b32_e32 v8, s7
	v_add_co_u32_e32 v6, vcc, s5, v6
	v_addc_co_u32_e32 v7, vcc, v8, v7, vcc
	global_load_ushort v6, v[6:7], off
	s_and_b64 vcc, exec, s[0:1]
	s_waitcnt vmcnt(0)
	ds_write_b16 v1, v6 offset:256
	v_pk_mov_b32 v[6:7], v[2:3], v[2:3] op_sel:[0,1]
	s_cbranch_vccnz .LBB28_7
; %bb.6:
	global_load_dword v6, v[4:5], off
	s_waitcnt vmcnt(0)
	v_ashrrev_i32_e32 v7, 31, v6
.LBB28_7:
	s_add_i32 s4, s4, s21
	s_ashr_i32 s5, s4, 31
	s_lshl_b64 s[10:11], s[4:5], 1
	s_add_u32 s5, s8, s10
	s_addc_u32 s7, s9, s11
	v_lshlrev_b64 v[6:7], 1, v[6:7]
	v_mov_b32_e32 v8, s7
	v_add_co_u32_e32 v6, vcc, s5, v6
	v_addc_co_u32_e32 v7, vcc, v8, v7, vcc
	global_load_ushort v6, v[6:7], off
	s_and_b64 vcc, exec, s[0:1]
	s_waitcnt vmcnt(0)
	ds_write_b16 v1, v6 offset:512
	s_cbranch_vccnz .LBB28_9
; %bb.8:
	global_load_dword v2, v[4:5], off
	s_waitcnt vmcnt(0)
	v_ashrrev_i32_e32 v3, 31, v2
.LBB28_9:
	s_add_i32 s0, s4, s21
	s_ashr_i32 s1, s0, 31
	s_lshl_b64 s[0:1], s[0:1], 1
	s_add_u32 s0, s8, s0
	s_addc_u32 s1, s9, s1
	v_lshlrev_b64 v[2:3], 1, v[2:3]
	v_mov_b32_e32 v4, s1
	v_add_co_u32_e32 v2, vcc, s0, v2
	v_addc_co_u32_e32 v3, vcc, v4, v3, vcc
	global_load_ushort v2, v[2:3], off
	s_waitcnt vmcnt(0)
	ds_write_b16 v1, v2 offset:768
.LBB28_10:
	s_or_b64 exec, exec, s[2:3]
	v_lshlrev_b32_e32 v0, 2, v0
	v_lshl_add_u32 v12, s6, 9, v0
	v_cmp_gt_i32_e32 vcc, s20, v12
	s_and_saveexec_b64 s[0:1], vcc
	s_cbranch_execz .LBB28_64
; %bb.11:
	s_abs_i32 s0, s22
	v_cvt_f32_u32_e32 v1, s0
	s_sub_i32 s3, 0, s0
	s_abs_i32 s2, s21
	s_xor_b32 s1, s21, s22
	v_rcp_iflag_f32_e32 v1, v1
	s_ashr_i32 s1, s1, 31
	v_and_b32_e32 v2, 28, v0
	v_cmp_lt_u32_e32 vcc, 4, v2
	v_mul_f32_e32 v1, 0x4f7ffffe, v1
	v_cvt_u32_f32_e32 v1, v1
	s_waitcnt lgkmcnt(0)
	s_barrier
	v_readfirstlane_b32 s4, v1
	s_mul_i32 s3, s3, s4
	s_mul_hi_u32 s3, s4, s3
	s_add_i32 s4, s4, s3
	s_mul_hi_u32 s3, s2, s4
	s_mul_i32 s4, s3, s0
	s_sub_i32 s2, s2, s4
	s_add_i32 s5, s3, 1
	s_sub_i32 s4, s2, s0
	s_cmp_ge_u32 s2, s0
	s_cselect_b32 s3, s5, s3
	s_cselect_b32 s2, s4, s2
	s_add_i32 s4, s3, 1
	s_cmp_ge_u32 s2, s0
	s_cselect_b32 s0, s4, s3
	s_xor_b32 s0, s0, s1
	s_sub_i32 s27, s0, s1
	v_cvt_f32_u32_e32 v1, s27
	s_sub_i32 s0, 0, s27
                                        ; implicit-def: $vgpr3
                                        ; implicit-def: $vgpr4
	v_rcp_iflag_f32_e32 v1, v1
	v_mul_f32_e32 v1, 0x4f7ffffe, v1
	v_cvt_u32_f32_e32 v1, v1
	v_readfirstlane_b32 s1, v1
	s_mul_i32 s0, s0, s1
	s_mul_hi_u32 s0, s1, s0
	s_add_i32 s1, s1, s0
	s_mul_hi_u32 s0, s25, s1
	s_mul_i32 s1, s0, s27
	s_sub_i32 s1, s25, s1
	s_add_i32 s2, s0, 1
	s_sub_i32 s3, s1, s27
	s_cmp_ge_u32 s1, s27
	s_cselect_b32 s0, s2, s0
	s_cselect_b32 s1, s3, s1
	s_add_i32 s2, s0, 1
	s_cmp_ge_u32 s1, s27
	s_cselect_b32 s28, s2, s0
	s_and_saveexec_b64 s[0:1], vcc
	s_xor_b64 s[2:3], exec, s[0:1]
	s_cbranch_execz .LBB28_25
; %bb.12:
	v_cmp_ne_u32_e64 s[0:1], 8, v2
                                        ; implicit-def: $vgpr3
                                        ; implicit-def: $vgpr4
	s_and_saveexec_b64 s[4:5], s[0:1]
	s_xor_b64 s[4:5], exec, s[4:5]
	s_cbranch_execz .LBB28_22
; %bb.13:
	v_cmp_lt_u32_e64 s[0:1], 16, v2
                                        ; implicit-def: $vgpr3
                                        ; implicit-def: $vgpr4
	s_and_saveexec_b64 s[6:7], s[0:1]
	s_xor_b64 s[6:7], exec, s[6:7]
	s_cbranch_execz .LBB28_19
; %bb.14:
	s_mul_i32 s8, s28, s20
	v_lshl_add_u32 v0, v12, 1, v12
	s_ashr_i32 s0, s8, 31
	v_ashrrev_i32_e32 v1, 31, v0
	s_lshr_b32 s0, s0, 27
	v_lshrrev_b32_e32 v1, 27, v1
	s_add_i32 s0, s8, s0
	v_add_u32_e32 v0, v0, v1
	s_ashr_i32 s0, s0, 5
	v_ashrrev_i32_e32 v0, 5, v0
	v_mad_u64_u32 v[0:1], s[0:1], s0, 3, v[0:1]
	v_ashrrev_i32_e32 v1, 31, v0
	v_lshlrev_b64 v[0:1], 2, v[0:1]
	v_mov_b32_e32 v3, s15
	v_add_co_u32_e64 v0, s[0:1], s14, v0
	v_addc_co_u32_e64 v1, s[0:1], v3, v1, s[0:1]
	global_load_dword v5, v[0:1], off
	v_cmp_ne_u32_e64 s[0:1], 20, v2
                                        ; implicit-def: $vgpr3
	s_and_saveexec_b64 s[10:11], s[0:1]
	s_xor_b64 s[0:1], exec, s[10:11]
	s_cbranch_execz .LBB28_16
; %bb.15:
	v_not_b32_e32 v0, 63
	v_mad_u32_u24 v0, v2, 3, v0
	s_waitcnt vmcnt(0)
	v_lshrrev_b32_e32 v3, v0, v5
                                        ; implicit-def: $vgpr0_vgpr1
                                        ; implicit-def: $vgpr5
.LBB28_16:
	s_or_saveexec_b64 s[0:1], s[0:1]
	v_mov_b32_e32 v4, s8
	s_xor_b64 exec, exec, s[0:1]
	s_cbranch_execz .LBB28_18
; %bb.17:
	global_load_dword v0, v[0:1], off offset:4
	v_mov_b32_e32 v4, s8
	s_waitcnt vmcnt(0)
	v_alignbit_b32 v0, v0, v5, 28
	v_and_b32_e32 v3, 0xfff, v0
.LBB28_18:
	s_or_b64 exec, exec, s[0:1]
.LBB28_19:
	s_andn2_saveexec_b64 s[6:7], s[6:7]
	s_cbranch_execz .LBB28_21
; %bb.20:
	s_mul_i32 s8, s28, s20
	v_lshl_add_u32 v0, v12, 1, v12
	s_ashr_i32 s0, s8, 31
	v_ashrrev_i32_e32 v1, 31, v0
	s_lshr_b32 s0, s0, 27
	v_lshrrev_b32_e32 v1, 27, v1
	s_add_i32 s0, s8, s0
	v_add_u32_e32 v0, v0, v1
	s_ashr_i32 s0, s0, 5
	v_ashrrev_i32_e32 v0, 5, v0
	v_mad_u64_u32 v[0:1], s[0:1], s0, 3, v[0:1]
	v_ashrrev_i32_e32 v1, 31, v0
	v_lshlrev_b64 v[0:1], 2, v[0:1]
	v_mov_b32_e32 v3, s15
	v_add_co_u32_e64 v0, s[0:1], s14, v0
	v_addc_co_u32_e64 v1, s[0:1], v3, v1, s[0:1]
	global_load_dword v0, v[0:1], off
	v_not_b32_e32 v1, 31
	v_mad_u32_u24 v1, v2, 3, v1
	v_mov_b32_e32 v4, s8
	s_waitcnt vmcnt(0)
	v_lshrrev_b32_e32 v3, v1, v0
.LBB28_21:
	s_or_b64 exec, exec, s[6:7]
.LBB28_22:
	s_andn2_saveexec_b64 s[4:5], s[4:5]
	s_cbranch_execz .LBB28_24
; %bb.23:
	s_mul_i32 s6, s28, s20
	v_lshl_add_u32 v0, v12, 1, v12
	s_ashr_i32 s0, s6, 31
	v_ashrrev_i32_e32 v1, 31, v0
	s_lshr_b32 s0, s0, 27
	v_lshrrev_b32_e32 v1, 27, v1
	s_add_i32 s0, s6, s0
	v_add_u32_e32 v0, v0, v1
	s_ashr_i32 s0, s0, 5
	v_ashrrev_i32_e32 v0, 5, v0
	v_mad_u64_u32 v[0:1], s[0:1], s0, 3, v[0:1]
	v_ashrrev_i32_e32 v1, 31, v0
	v_lshlrev_b64 v[0:1], 2, v[0:1]
	v_mov_b32_e32 v3, s15
	v_add_co_u32_e64 v0, s[0:1], s14, v0
	v_addc_co_u32_e64 v1, s[0:1], v3, v1, s[0:1]
	global_load_dwordx2 v[0:1], v[0:1], off
	s_mov_b32 s0, 0x2010007
	v_mov_b32_e32 v4, s6
	s_waitcnt vmcnt(0)
	v_perm_b32 v0, v0, v1, s0
	v_and_b32_e32 v3, 0xfff, v0
.LBB28_24:
	s_or_b64 exec, exec, s[4:5]
.LBB28_25:
	s_or_saveexec_b64 s[2:3], s[2:3]
	v_lshl_add_u32 v0, v12, 1, v12
	v_ashrrev_i32_e32 v1, 31, v0
	v_mul_u32_u24_e32 v22, 3, v2
	s_xor_b64 exec, exec, s[2:3]
	s_cbranch_execz .LBB28_27
; %bb.26:
	s_mul_i32 s4, s28, s20
	s_ashr_i32 s0, s4, 31
	s_lshr_b32 s0, s0, 27
	v_lshrrev_b32_e32 v3, 27, v1
	s_add_i32 s0, s4, s0
	v_add_u32_e32 v3, v0, v3
	s_ashr_i32 s0, s0, 5
	v_ashrrev_i32_e32 v4, 5, v3
	s_waitcnt vmcnt(0)
	v_mad_u64_u32 v[4:5], s[0:1], s0, 3, v[4:5]
	v_ashrrev_i32_e32 v5, 31, v4
	v_lshlrev_b64 v[4:5], 2, v[4:5]
	v_mov_b32_e32 v3, s15
	v_add_co_u32_e64 v4, s[0:1], s14, v4
	v_addc_co_u32_e64 v5, s[0:1], v3, v5, s[0:1]
	global_load_dword v3, v[4:5], off
	v_mov_b32_e32 v4, s4
	s_waitcnt vmcnt(0)
	v_lshrrev_b32_e32 v3, v22, v3
.LBB28_27:
	s_or_b64 exec, exec, s[2:3]
	s_cmp_ge_i32 s25, s26
	v_mov_b32_e32 v26, 0
	v_mov_b32_e32 v25, 0
	;; [unrolled: 1-line block ×8, first 2 shown]
	s_cbranch_scc1 .LBB28_48
; %bb.28:
	v_add_u32_e32 v4, v4, v12
	s_waitcnt vmcnt(0)
	v_ashrrev_i32_e32 v5, 31, v4
	v_lshlrev_b64 v[4:5], 1, v[4:5]
	v_mov_b32_e32 v6, s17
	v_add_co_u32_e64 v4, s[0:1], s16, v4
	v_addc_co_u32_e64 v5, s[0:1], v6, v5, s[0:1]
	global_load_dwordx2 v[18:19], v[4:5], off
	s_lshr_b32 s0, s25, 5
	s_mul_i32 s0, s0, s20
	s_mul_i32 s6, s0, 3
	s_add_i32 s29, s27, s25
	s_ashr_i32 s7, s6, 31
	s_bitcmp1_b32 s23, 0
	v_lshrrev_b32_e32 v1, 27, v1
	s_cselect_b64 s[0:1], -1, 0
	v_add_u32_e32 v0, v0, v1
	s_xor_b64 s[0:1], s[0:1], -1
	v_ashrrev_i32_e32 v14, 5, v0
	v_not_b32_e32 v0, 63
	s_ashr_i32 s21, s20, 31
	s_lshl_b64 s[6:7], s[6:7], 2
	v_ashrrev_i32_e32 v13, 31, v12
	v_mad_u32_u24 v28, v2, 3, v0
	v_not_b32_e32 v0, 31
	s_add_u32 s6, s12, s6
	v_mad_u32_u24 v29, v2, 3, v0
	v_lshlrev_b64 v[0:1], 2, v[12:13]
	s_addc_u32 s7, s13, s7
	v_cndmask_b32_e64 v27, 0, 1, s[0:1]
	v_cmp_ne_u32_e64 s[0:1], 8, v2
	v_cmp_lt_u32_e64 s[2:3], 16, v2
	v_cmp_ne_u32_e64 s[4:5], 20, v2
	v_mov_b32_e32 v2, s7
	v_add_co_u32_e64 v16, s[6:7], s6, v0
	v_and_b32_e32 v30, 7, v3
	v_bfe_u32 v31, v3, 3, 3
	v_bfe_u32 v32, v3, 6, 3
	;; [unrolled: 1-line block ×3, first 2 shown]
	v_addc_co_u32_e64 v17, s[6:7], v2, v1, s[6:7]
	s_mul_hi_i32 s30, s20, 12
	s_mul_i32 s31, s20, 12
	s_lshl_b64 s[8:9], s[20:21], 2
	s_mov_b32 s21, 0
	v_mov_b32_e32 v13, 0
	s_mov_b32 s33, 0x2010007
	s_mov_b32 s34, 0x64006400
	s_mov_b32 s35, 0x10001
	s_movk_i32 s36, 0x3000
	s_movk_i32 s37, 0x2400
	s_mov_b32 s38, 0x7060302
	v_mov_b32_e32 v15, 0
	v_mov_b32_e32 v20, 0
	v_mov_b32_e32 v21, 0
	v_mov_b32_e32 v23, 0
	v_mov_b32_e32 v24, 0
	v_mov_b32_e32 v25, 0
	v_mov_b32_e32 v26, 0
	s_branch .LBB28_31
.LBB28_29:                              ;   in Loop: Header=BB28_31 Depth=1
	s_or_b64 exec, exec, s[6:7]
	v_add_u32_e32 v0, s39, v12
	v_ashrrev_i32_e32 v1, 31, v0
	v_lshlrev_b64 v[0:1], 1, v[0:1]
	s_waitcnt vmcnt(0)
	v_mov_b32_e32 v3, s17
	v_add_co_u32_e64 v0, s[6:7], s16, v0
	v_addc_co_u32_e64 v1, s[6:7], v3, v1, s[6:7]
	global_load_dwordx2 v[18:19], v[0:1], off
	s_add_i32 s29, s29, s27
	v_and_b32_e32 v30, 7, v2
	v_bfe_u32 v31, v2, 3, 3
	v_bfe_u32 v32, v2, 6, 3
	;; [unrolled: 1-line block ×3, first 2 shown]
.LBB28_30:                              ;   in Loop: Header=BB28_31 Depth=1
	v_mov_b32_e32 v2, s9
	v_add_co_u32_e64 v0, s[6:7], s8, v16
	global_load_dwordx4 v[8:11], v[16:17], off
	v_addc_co_u32_e64 v1, s[6:7], v17, v2, s[6:7]
	global_load_dwordx4 v[4:7], v[0:1], off
	v_add_co_u32_e64 v0, s[6:7], s8, v0
	v_addc_co_u32_e64 v1, s[6:7], v1, v2, s[6:7]
	global_load_dwordx4 v[0:3], v[0:1], off
	v_add_u32_e32 v35, v31, v27
	v_or_b32_e32 v74, 0xffffe400, v35
	v_cvt_f32_i32_e32 v35, v35
	v_add_u32_e32 v34, v30, v27
	v_add_u32_e32 v36, v32, v27
	;; [unrolled: 1-line block ×3, first 2 shown]
	v_or_b32_e32 v78, 0xffffe400, v34
	v_cvt_f32_i32_e32 v34, v34
	v_or_b32_e32 v72, 0xffffe400, v36
	v_cvt_f32_i32_e32 v36, v36
	;; [unrolled: 2-line block ×3, first 2 shown]
	v_cvt_f16_f32_e32 v42, v35
	v_cvt_f16_f32_e32 v41, v34
	;; [unrolled: 1-line block ×4, first 2 shown]
	v_sub_f16_e32 v81, 0xd800, v42
	v_sub_f16_e32 v67, 0xd800, v41
	;; [unrolled: 1-line block ×8, first 2 shown]
	s_add_i32 s25, s25, 32
	v_add_co_u32_e64 v16, s[6:7], s31, v16
	s_waitcnt vmcnt(2)
	v_and_b32_e32 v34, 0x70007, v8
	v_and_b32_e32 v36, 0x380038, v9
	;; [unrolled: 1-line block ×3, first 2 shown]
	v_lshrrev_b32_e32 v47, 6, v8
	v_lshrrev_b32_e32 v86, 15, v8
	v_and_b32_e32 v8, 0x70007, v9
	v_lshrrev_b32_e32 v48, 6, v9
	v_lshrrev_b32_e32 v85, 15, v9
	v_and_b32_e32 v9, 0x70007, v10
	v_and_b32_e32 v37, 0x380038, v10
	v_lshrrev_b32_e32 v57, 6, v10
	v_lshrrev_b32_e32 v84, 15, v10
	v_or_b32_e32 v10, 0x64006400, v34
	v_or_b32_e32 v34, 0x64006400, v36
	s_waitcnt vmcnt(1)
	v_and_b32_e32 v54, 0x70007, v4
	v_and_b32_e32 v51, 0x380038, v4
	v_lshrrev_b32_e32 v59, 6, v4
	v_lshrrev_b32_e32 v88, 14, v4
	v_pk_add_f16 v4, v78, v10 op_sel_hi:[0,1]
	v_pk_fma_f16 v10, v34, s36, v81 op_sel_hi:[1,0,0]
	v_mov_b32_e32 v34, s21
	s_waitcnt vmcnt(0)
	v_and_b32_e32 v66, 0x70007, v1
	v_and_b32_e32 v68, 0x380038, v1
	v_lshrrev_b32_e32 v96, 6, v1
	v_lshrrev_b32_e32 v97, 13, v1
	v_or_b32_e32 v1, 0x64006400, v37
	ds_read2_b32 v[36:37], v34 offset1:1
	v_and_b32_e32 v38, 0x70007, v11
	v_and_b32_e32 v39, 0x380038, v11
	v_lshrrev_b32_e32 v58, 6, v11
	v_lshrrev_b32_e32 v82, 15, v11
	v_or_b32_e32 v11, 0x64006400, v35
	v_or_b32_e32 v8, 0x64006400, v8
	v_and_b32_e32 v63, 0x70007, v5
	v_and_b32_e32 v50, 0x380038, v5
	v_lshrrev_b32_e32 v56, 6, v5
	v_lshrrev_b32_e32 v91, 14, v5
	v_pk_fma_f16 v11, v11, s36, v67 op_sel_hi:[1,0,0]
	v_pk_add_f16 v5, v74, v8 op_sel_hi:[0,1]
	v_and_b32_e32 v62, 0x70007, v0
	v_and_b32_e32 v65, 0x380038, v0
	v_lshrrev_b32_e32 v89, 6, v0
	v_lshrrev_b32_e32 v98, 13, v0
	v_or_b32_e32 v0, 0x64006400, v9
	s_waitcnt lgkmcnt(0)
	v_pk_fma_f16 v35, v4, v36, 0
	v_and_b32_e32 v69, 0x70007, v7
	v_and_b32_e32 v60, 0x380038, v7
	v_lshrrev_b32_e32 v61, 6, v7
	v_lshrrev_b32_e32 v87, 14, v7
	v_pk_add_f16 v7, v72, v0 op_sel_hi:[0,1]
	v_or_b32_e32 v0, 0x64006400, v38
	v_pk_fma_f16 v75, v11, v37, v35
	v_pk_fma_f16 v35, v5, v36, 0
	v_and_b32_e32 v64, 0x70007, v6
	v_and_b32_e32 v49, 0x380038, v6
	v_lshrrev_b32_e32 v55, 6, v6
	v_lshrrev_b32_e32 v90, 14, v6
	v_pk_fma_f16 v8, v1, s36, v83 op_sel_hi:[1,0,0]
	v_or_b32_e32 v1, 0x64006400, v39
	v_pk_add_f16 v6, v73, v0 op_sel_hi:[0,1]
	v_pk_fma_f16 v76, v10, v37, v35
	v_pk_fma_f16 v35, v7, v36, 0
	v_pk_fma_f16 v9, v1, s36, v99 op_sel_hi:[1,0,0]
	v_pk_fma_f16 v80, v8, v37, v35
	v_pk_fma_f16 v35, v6, v36, 0
	;; [unrolled: 1-line block ×3, first 2 shown]
	v_and_b32_e32 v35, 0x70007, v47
	v_or_b32_e32 v35, 0x64006400, v35
	v_and_b32_e32 v36, 0x380038, v47
	v_or_b32_e32 v36, 0x64006400, v36
	v_pk_add_f16 v45, v78, v35 op_sel_hi:[0,1]
	v_and_b32_e32 v35, 0x70007, v48
	v_pk_fma_f16 v46, v36, s36, v67 op_sel_hi:[1,0,0]
	v_or_b32_e32 v35, 0x64006400, v35
	v_and_b32_e32 v36, 0x380038, v48
	v_or_b32_e32 v36, 0x64006400, v36
	v_pk_add_f16 v39, v74, v35 op_sel_hi:[0,1]
	v_and_b32_e32 v35, 0x70007, v57
	v_pk_fma_f16 v40, v36, s36, v81 op_sel_hi:[1,0,0]
	v_or_b32_e32 v35, 0x64006400, v35
	v_and_b32_e32 v36, 0x380038, v57
	v_and_b32_e32 v70, 0x70007, v2
	;; [unrolled: 1-line block ×3, first 2 shown]
	v_lshrrev_b32_e32 v94, 6, v2
	v_lshrrev_b32_e32 v95, 13, v2
	v_and_b32_e32 v77, 0x70007, v3
	v_and_b32_e32 v79, 0x380038, v3
	v_lshrrev_b32_e32 v92, 6, v3
	v_lshrrev_b32_e32 v93, 13, v3
	ds_read2_b32 v[52:53], v34 offset0:2 offset1:3
	ds_read2_b32 v[2:3], v34 offset0:4 offset1:5
	;; [unrolled: 1-line block ×3, first 2 shown]
	v_or_b32_e32 v36, 0x64006400, v36
	v_pk_add_f16 v37, v72, v35 op_sel_hi:[0,1]
	v_and_b32_e32 v35, 0x70007, v58
	v_pk_fma_f16 v38, v36, s36, v83 op_sel_hi:[1,0,0]
	v_or_b32_e32 v35, 0x64006400, v35
	v_and_b32_e32 v36, 0x380038, v58
	v_or_b32_e32 v36, 0x64006400, v36
	v_pk_add_f16 v35, v73, v35 op_sel_hi:[0,1]
	v_and_b32_e32 v41, 0x1c001c0, v47
	v_pk_fma_f16 v36, v36, s36, v99 op_sel_hi:[1,0,0]
	s_waitcnt lgkmcnt(2)
	v_pk_fma_f16 v75, v45, v52, v75
	v_pk_fma_f16 v76, v39, v52, v76
	;; [unrolled: 1-line block ×4, first 2 shown]
	v_or_b32_e32 v41, 0x64006400, v41
	v_pk_fma_f16 v75, v46, v53, v75
	v_pk_fma_f16 v76, v40, v53, v76
	;; [unrolled: 1-line block ×4, first 2 shown]
	v_pk_fma_f16 v53, v41, s37, v108 op_sel_hi:[1,0,0]
	v_and_b32_e32 v41, 0x1c001c0, v48
	v_or_b32_e32 v41, 0x64006400, v41
	v_pk_fma_f16 v47, v41, s37, v109 op_sel_hi:[1,0,0]
	v_and_b32_e32 v41, 0x1c001c0, v57
	v_or_b32_e32 v42, 0x64006400, v54
	v_or_b32_e32 v41, 0x64006400, v41
	v_pk_add_f16 v54, v78, v42 op_sel_hi:[0,1]
	v_or_b32_e32 v42, 0x64006400, v63
	v_pk_fma_f16 v43, v41, s37, v110 op_sel_hi:[1,0,0]
	v_and_b32_e32 v41, 0x1c001c0, v58
	v_pk_add_f16 v48, v74, v42 op_sel_hi:[0,1]
	v_or_b32_e32 v42, 0x64006400, v64
	v_or_b32_e32 v41, 0x64006400, v41
	s_waitcnt lgkmcnt(1)
	v_pk_fma_f16 v57, v53, v2, v75
	v_pk_add_f16 v44, v72, v42 op_sel_hi:[0,1]
	v_or_b32_e32 v42, 0x64006400, v69
	v_pk_fma_f16 v41, v41, s37, v111 op_sel_hi:[1,0,0]
	v_pk_fma_f16 v63, v54, v3, v57
	v_pk_fma_f16 v57, v47, v2, v76
	v_pk_add_f16 v42, v73, v42 op_sel_hi:[0,1]
	v_pk_fma_f16 v64, v48, v3, v57
	v_pk_fma_f16 v57, v43, v2, v80
	;; [unrolled: 1-line block ×5, first 2 shown]
	v_and_b32_e32 v3, 0x70007, v59
	v_or_b32_e32 v3, 0x64006400, v3
	v_pk_add_f16 v57, v78, v3 op_sel_hi:[0,1]
	v_and_b32_e32 v3, 0x70007, v56
	v_or_b32_e32 v2, 0x64006400, v51
	v_or_b32_e32 v3, 0x64006400, v3
	v_pk_fma_f16 v58, v2, s36, v67 op_sel_hi:[1,0,0]
	v_or_b32_e32 v2, 0x64006400, v50
	v_pk_add_f16 v52, v74, v3 op_sel_hi:[0,1]
	v_and_b32_e32 v3, 0x70007, v55
	v_pk_fma_f16 v51, v2, s36, v81 op_sel_hi:[1,0,0]
	v_or_b32_e32 v2, 0x64006400, v49
	v_or_b32_e32 v3, 0x64006400, v3
	v_pk_fma_f16 v49, v2, s36, v83 op_sel_hi:[1,0,0]
	v_pk_add_f16 v50, v72, v3 op_sel_hi:[0,1]
	v_or_b32_e32 v2, 0x64006400, v60
	v_and_b32_e32 v3, 0x70007, v61
	s_waitcnt lgkmcnt(0)
	v_pk_fma_f16 v60, v58, v0, v63
	v_or_b32_e32 v3, 0x64006400, v3
	v_pk_fma_f16 v2, v2, s36, v99 op_sel_hi:[1,0,0]
	v_pk_fma_f16 v76, v57, v1, v60
	v_pk_fma_f16 v60, v51, v0, v64
	v_pk_add_f16 v3, v73, v3 op_sel_hi:[0,1]
	v_pk_fma_f16 v80, v52, v1, v60
	v_pk_fma_f16 v60, v49, v0, v69
	;; [unrolled: 1-line block ×5, first 2 shown]
	v_and_b32_e32 v0, 0x380038, v59
	v_and_b32_e32 v1, 0x1c001c0, v59
	v_or_b32_e32 v0, 0x64006400, v0
	v_or_b32_e32 v1, 0x64006400, v1
	ds_read2_b32 v[100:101], v34 offset0:8 offset1:9
	v_pk_fma_f16 v63, v0, s36, v67 op_sel_hi:[1,0,0]
	v_pk_fma_f16 v64, v1, s37, v108 op_sel_hi:[1,0,0]
	v_and_b32_e32 v0, 0x380038, v56
	v_and_b32_e32 v1, 0x1c001c0, v56
	v_or_b32_e32 v0, 0x64006400, v0
	v_or_b32_e32 v1, 0x64006400, v1
	v_pk_fma_f16 v59, v0, s36, v81 op_sel_hi:[1,0,0]
	v_pk_fma_f16 v60, v1, s37, v109 op_sel_hi:[1,0,0]
	v_and_b32_e32 v0, 0x380038, v55
	v_and_b32_e32 v1, 0x1c001c0, v55
	v_or_b32_e32 v0, 0x64006400, v0
	v_or_b32_e32 v1, 0x64006400, v1
	v_pk_fma_f16 v55, v0, s36, v83 op_sel_hi:[1,0,0]
	v_pk_fma_f16 v56, v1, s37, v110 op_sel_hi:[1,0,0]
	v_and_b32_e32 v0, 0x380038, v61
	v_and_b32_e32 v1, 0x1c001c0, v61
	s_waitcnt lgkmcnt(0)
	v_pk_fma_f16 v61, v63, v100, v76
	v_or_b32_e32 v0, 0x64006400, v0
	v_pk_fma_f16 v112, v64, v101, v61
	v_pk_fma_f16 v61, v59, v100, v80
	v_or_b32_e32 v1, 0x64006400, v1
	v_pk_fma_f16 v0, v0, s36, v99 op_sel_hi:[1,0,0]
	v_pk_fma_f16 v80, v60, v101, v61
	v_pk_fma_f16 v61, v55, v100, v69
	v_pk_fma_f16 v1, v1, s37, v111 op_sel_hi:[1,0,0]
	ds_read2_b32 v[102:103], v34 offset0:10 offset1:11
	ds_read2_b32 v[104:105], v34 offset0:12 offset1:13
	;; [unrolled: 1-line block ×3, first 2 shown]
	v_pk_fma_f16 v113, v56, v101, v61
	v_pk_fma_f16 v61, v0, v100, v75
	;; [unrolled: 1-line block ×3, first 2 shown]
	v_or_b32_e32 v61, 0x64006400, v62
	v_or_b32_e32 v62, 0x64006400, v65
	v_pk_add_f16 v75, v78, v61 op_sel_hi:[0,1]
	v_or_b32_e32 v61, 0x64006400, v66
	v_pk_fma_f16 v76, v62, s36, v67 op_sel_hi:[1,0,0]
	v_or_b32_e32 v62, 0x64006400, v68
	v_pk_add_f16 v68, v74, v61 op_sel_hi:[0,1]
	v_or_b32_e32 v61, 0x64006400, v70
	s_waitcnt lgkmcnt(2)
	v_pk_fma_f16 v70, v75, v102, v112
	v_pk_fma_f16 v69, v62, s36, v81 op_sel_hi:[1,0,0]
	v_or_b32_e32 v62, 0x64006400, v71
	v_pk_add_f16 v65, v72, v61 op_sel_hi:[0,1]
	v_or_b32_e32 v61, 0x64006400, v77
	v_pk_fma_f16 v101, v76, v103, v70
	v_pk_fma_f16 v70, v68, v102, v80
	v_pk_fma_f16 v66, v62, s36, v83 op_sel_hi:[1,0,0]
	v_or_b32_e32 v62, 0x64006400, v79
	v_pk_add_f16 v61, v73, v61 op_sel_hi:[0,1]
	v_pk_fma_f16 v112, v69, v103, v70
	v_pk_fma_f16 v70, v65, v102, v113
	v_pk_fma_f16 v62, v62, s36, v99 op_sel_hi:[1,0,0]
	v_pk_fma_f16 v113, v66, v103, v70
	v_pk_fma_f16 v70, v61, v102, v100
	;; [unrolled: 1-line block ×3, first 2 shown]
	v_and_b32_e32 v70, 0x380038, v89
	v_or_b32_e32 v70, 0x64006400, v70
	v_pk_fma_f16 v80, v70, s36, v67 op_sel_hi:[1,0,0]
	v_and_b32_e32 v67, 0x380038, v96
	v_or_b32_e32 v67, 0x64006400, v67
	v_and_b32_e32 v88, 0x20002, v88
	v_pk_fma_f16 v79, v67, s36, v81 op_sel_hi:[1,0,0]
	v_and_b32_e32 v67, 0x380038, v94
	v_and_b32_e32 v71, 0x70007, v89
	v_and_or_b32 v86, v86, s35, v88
	v_and_b32_e32 v88, 0x40004, v98
	v_or_b32_e32 v67, 0x64006400, v67
	v_or_b32_e32 v71, 0x64006400, v71
	v_or3_b32 v86, v86, v88, s34
	v_pk_fma_f16 v70, v67, s36, v83 op_sel_hi:[1,0,0]
	v_pk_add_f16 v83, v78, v71 op_sel_hi:[0,1]
	v_and_b32_e32 v88, 0x1c001c0, v89
	v_pk_add_f16 v89, v78, v86 op_sel_hi:[0,1]
	v_and_b32_e32 v78, 0x20002, v91
	v_and_b32_e32 v71, 0x70007, v96
	v_and_or_b32 v78, v85, s35, v78
	v_and_b32_e32 v85, 0x40004, v97
	v_or_b32_e32 v71, 0x64006400, v71
	v_or3_b32 v78, v78, v85, s34
	v_pk_add_f16 v81, v74, v71 op_sel_hi:[0,1]
	v_pk_add_f16 v86, v74, v78 op_sel_hi:[0,1]
	v_and_b32_e32 v74, 0x20002, v90
	v_and_b32_e32 v71, 0x70007, v94
	v_and_or_b32 v74, v84, s35, v74
	v_and_b32_e32 v78, 0x40004, v95
	v_or_b32_e32 v71, 0x64006400, v71
	v_or3_b32 v78, v74, v78, s34
	v_pk_add_f16 v77, v72, v71 op_sel_hi:[0,1]
	v_pk_add_f16 v78, v72, v78 op_sel_hi:[0,1]
	v_and_b32_e32 v72, 0x20002, v87
	v_and_or_b32 v72, v82, s35, v72
	v_and_b32_e32 v82, 0x40004, v93
	v_and_b32_e32 v67, 0x380038, v92
	;; [unrolled: 1-line block ×3, first 2 shown]
	v_or3_b32 v82, v72, v82, s34
	v_and_b32_e32 v72, 0x1c001c0, v92
	ds_read2_b32 v[92:93], v34 offset0:64 offset1:65
	v_or_b32_e32 v67, 0x64006400, v67
	v_or_b32_e32 v71, 0x64006400, v71
	v_pk_fma_f16 v67, v67, s36, v99 op_sel_hi:[1,0,0]
	v_pk_add_f16 v71, v73, v71 op_sel_hi:[0,1]
	s_waitcnt lgkmcnt(2)
	v_pk_fma_f16 v99, v83, v104, v101
	v_or_b32_e32 v88, 0x64006400, v88
	v_pk_fma_f16 v99, v80, v105, v99
	v_pk_fma_f16 v100, v71, v104, v100
	v_pk_fma_f16 v88, v88, s37, v108 op_sel_hi:[1,0,0]
	v_and_b32_e32 v85, 0x1c001c0, v96
	v_or_b32_e32 v72, 0x64006400, v72
	v_pk_fma_f16 v101, v81, v104, v112
	v_pk_fma_f16 v100, v67, v105, v100
	v_or_b32_e32 v85, 0x64006400, v85
	v_and_b32_e32 v74, 0x1c001c0, v94
	v_pk_fma_f16 v72, v72, s37, v111 op_sel_hi:[1,0,0]
	v_pk_add_f16 v73, v73, v82 op_sel_hi:[0,1]
	s_waitcnt lgkmcnt(1)
	v_pk_fma_f16 v82, v88, v106, v99
	ds_read2_b32 v[94:95], v34 offset0:66 offset1:67
	ds_read2_b32 v[96:97], v34 offset0:68 offset1:69
	;; [unrolled: 1-line block ×3, first 2 shown]
	v_pk_fma_f16 v101, v79, v105, v101
	v_pk_fma_f16 v85, v85, s37, v109 op_sel_hi:[1,0,0]
	v_pk_fma_f16 v90, v72, v106, v100
	s_waitcnt lgkmcnt(3)
	v_pk_fma_f16 v100, v5, v92, 0
	v_pk_fma_f16 v84, v85, v106, v101
	;; [unrolled: 1-line block ×9, first 2 shown]
	s_waitcnt lgkmcnt(2)
	v_pk_fma_f16 v93, v39, v94, v100
	v_pk_fma_f16 v93, v40, v95, v93
	;; [unrolled: 1-line block ×5, first 2 shown]
	s_waitcnt lgkmcnt(1)
	v_pk_fma_f16 v93, v47, v96, v93
	v_pk_fma_f16 v91, v45, v94, v91
	;; [unrolled: 1-line block ×7, first 2 shown]
	s_waitcnt lgkmcnt(0)
	v_pk_fma_f16 v93, v51, v98, v93
	v_pk_fma_f16 v92, v42, v97, v92
	;; [unrolled: 1-line block ×7, first 2 shown]
	ds_read2_b32 v[92:93], v34 offset0:72 offset1:73
	v_pk_fma_f16 v91, v53, v96, v91
	v_pk_fma_f16 v102, v77, v104, v113
	v_or_b32_e32 v74, 0x64006400, v74
	v_pk_fma_f16 v91, v54, v97, v91
	v_pk_fma_f16 v102, v70, v105, v102
	v_pk_fma_f16 v74, v74, s37, v110 op_sel_hi:[1,0,0]
	v_pk_fma_f16 v91, v58, v98, v91
	v_pk_fma_f16 v87, v86, v107, v84
	;; [unrolled: 1-line block ×5, first 2 shown]
	ds_read2_b32 v[94:95], v34 offset0:74 offset1:75
	ds_read2_b32 v[96:97], v34 offset0:76 offset1:77
	;; [unrolled: 1-line block ×3, first 2 shown]
	s_waitcnt lgkmcnt(3)
	v_pk_fma_f16 v100, v59, v92, v100
	v_pk_fma_f16 v91, v63, v92, v91
	;; [unrolled: 1-line block ×8, first 2 shown]
	s_waitcnt lgkmcnt(2)
	v_pk_fma_f16 v93, v68, v94, v100
	v_pk_fma_f16 v93, v69, v95, v93
	;; [unrolled: 1-line block ×5, first 2 shown]
	s_waitcnt lgkmcnt(1)
	v_pk_fma_f16 v93, v81, v96, v93
	v_pk_fma_f16 v91, v75, v94, v91
	;; [unrolled: 1-line block ×7, first 2 shown]
	s_waitcnt lgkmcnt(0)
	v_pk_fma_f16 v93, v85, v98, v93
	v_pk_fma_f16 v92, v67, v97, v92
	;; [unrolled: 1-line block ×7, first 2 shown]
	ds_read2_b32 v[92:93], v34 offset0:128 offset1:129
	v_pk_fma_f16 v91, v83, v96, v91
	v_pk_fma_f16 v91, v80, v97, v91
	;; [unrolled: 1-line block ×5, first 2 shown]
	ds_read2_b32 v[94:95], v34 offset0:130 offset1:131
	ds_read2_b32 v[96:97], v34 offset0:132 offset1:133
	;; [unrolled: 1-line block ×3, first 2 shown]
	s_waitcnt lgkmcnt(3)
	v_pk_fma_f16 v103, v4, v92, 0
	v_pk_fma_f16 v103, v11, v93, v103
	v_pk_fma_f16 v104, v5, v92, 0
	v_pk_fma_f16 v105, v7, v92, 0
	v_pk_fma_f16 v92, v6, v92, 0
	v_pk_fma_f16 v104, v10, v93, v104
	v_pk_fma_f16 v105, v8, v93, v105
	v_pk_fma_f16 v92, v9, v93, v92
	s_waitcnt lgkmcnt(2)
	v_pk_fma_f16 v93, v45, v94, v103
	v_pk_fma_f16 v93, v46, v95, v93
	;; [unrolled: 1-line block ×5, first 2 shown]
	s_waitcnt lgkmcnt(1)
	v_pk_fma_f16 v93, v53, v96, v93
	v_pk_fma_f16 v104, v38, v95, v104
	;; [unrolled: 1-line block ×8, first 2 shown]
	s_waitcnt lgkmcnt(0)
	v_pk_fma_f16 v93, v58, v98, v93
	v_pk_fma_f16 v95, v44, v97, v95
	;; [unrolled: 1-line block ×10, first 2 shown]
	ds_read2_b32 v[92:93], v34 offset0:136 offset1:137
	v_pk_fma_f16 v106, v3, v99, v94
	ds_read2_b32 v[94:95], v34 offset0:138 offset1:139
	ds_read2_b32 v[96:97], v34 offset0:140 offset1:141
	;; [unrolled: 1-line block ×3, first 2 shown]
	v_pk_fma_f16 v82, v89, v107, v82
	v_pk_fma_f16 v84, v78, v107, v84
	s_waitcnt lgkmcnt(3)
	v_pk_fma_f16 v103, v63, v92, v103
	v_pk_fma_f16 v104, v59, v92, v104
	;; [unrolled: 1-line block ×8, first 2 shown]
	s_waitcnt lgkmcnt(2)
	v_pk_fma_f16 v93, v75, v94, v103
	v_pk_fma_f16 v103, v68, v94, v104
	;; [unrolled: 1-line block ×8, first 2 shown]
	s_waitcnt lgkmcnt(1)
	v_pk_fma_f16 v93, v83, v96, v93
	v_pk_fma_f16 v94, v81, v96, v103
	;; [unrolled: 1-line block ×4, first 2 shown]
	v_pack_b32_f16 v96, v82, v87
	v_perm_b32 v82, v87, v82, s38
	v_pk_fma_f16 v90, v73, v107, v90
	v_pk_add_f16 v82, v96, v82
	v_pk_fma_f16 v26, v82, v18, v26
	v_pack_b32_f16 v82, v84, v90
	v_perm_b32 v84, v90, v84, s38
	v_pk_add_f16 v82, v82, v84
	v_pk_fma_f16 v25, v82, v19, v25
	v_pack_b32_f16 v82, v91, v100
	v_perm_b32 v84, v100, v91, s38
	v_pk_fma_f16 v93, v80, v97, v93
	v_pk_fma_f16 v94, v79, v97, v94
	v_pk_add_f16 v82, v82, v84
	s_waitcnt lgkmcnt(0)
	v_pk_fma_f16 v93, v88, v98, v93
	v_pk_fma_f16 v94, v85, v98, v94
	;; [unrolled: 1-line block ×3, first 2 shown]
	v_pack_b32_f16 v82, v101, v102
	v_perm_b32 v84, v102, v101, s38
	ds_read2_b32 v[90:91], v34 offset0:192 offset1:193
	v_pk_fma_f16 v95, v70, v97, v95
	v_pk_fma_f16 v92, v67, v97, v92
	;; [unrolled: 1-line block ×4, first 2 shown]
	v_pk_add_f16 v82, v82, v84
	v_pk_fma_f16 v95, v74, v98, v95
	v_pk_fma_f16 v92, v72, v98, v92
	;; [unrolled: 1-line block ×3, first 2 shown]
	v_pack_b32_f16 v82, v93, v94
	v_perm_b32 v84, v94, v93, s38
	v_pk_fma_f16 v95, v78, v99, v95
	v_pk_fma_f16 v92, v73, v99, v92
	v_pk_add_f16 v82, v82, v84
	v_pk_fma_f16 v21, v82, v18, v21
	v_pack_b32_f16 v82, v95, v92
	v_perm_b32 v84, v92, v95, s38
	ds_read2_b32 v[92:93], v34 offset0:194 offset1:195
	ds_read2_b32 v[94:95], v34 offset0:196 offset1:197
	;; [unrolled: 1-line block ×3, first 2 shown]
	s_waitcnt lgkmcnt(3)
	v_pk_fma_f16 v4, v4, v90, 0
	v_pk_fma_f16 v5, v5, v90, 0
	;; [unrolled: 1-line block ×4, first 2 shown]
	s_waitcnt lgkmcnt(2)
	v_pk_fma_f16 v4, v45, v92, v4
	v_pk_fma_f16 v5, v39, v92, v5
	;; [unrolled: 1-line block ×3, first 2 shown]
	ds_read2_b32 v[98:99], v34 offset0:200 offset1:201
	v_pk_fma_f16 v5, v40, v93, v5
	s_waitcnt lgkmcnt(2)
	v_pk_fma_f16 v4, v53, v94, v4
	v_pk_fma_f16 v5, v47, v94, v5
	;; [unrolled: 1-line block ×4, first 2 shown]
	s_waitcnt lgkmcnt(1)
	v_pk_fma_f16 v4, v58, v96, v4
	v_pk_fma_f16 v5, v51, v96, v5
	;; [unrolled: 1-line block ×3, first 2 shown]
	ds_read2_b32 v[100:101], v34 offset0:202 offset1:203
	ds_read2_b32 v[102:103], v34 offset0:204 offset1:205
	;; [unrolled: 1-line block ×3, first 2 shown]
	v_pk_fma_f16 v5, v52, v97, v5
	s_waitcnt lgkmcnt(3)
	v_pk_fma_f16 v4, v63, v98, v4
	v_pk_fma_f16 v5, v59, v98, v5
	v_pk_fma_f16 v4, v64, v99, v4
	v_pk_fma_f16 v5, v60, v99, v5
	s_waitcnt lgkmcnt(2)
	v_pk_fma_f16 v4, v75, v100, v4
	v_pk_fma_f16 v5, v68, v100, v5
	v_pk_fma_f16 v4, v76, v101, v4
	v_pk_fma_f16 v5, v69, v101, v5
	s_waitcnt lgkmcnt(1)
	v_pk_fma_f16 v4, v83, v102, v4
	v_pk_fma_f16 v5, v81, v102, v5
	v_pk_fma_f16 v4, v80, v103, v4
	v_pk_fma_f16 v5, v79, v103, v5
	s_waitcnt lgkmcnt(0)
	v_pk_fma_f16 v4, v88, v104, v4
	v_pk_fma_f16 v5, v85, v104, v5
	v_pk_fma_f16 v4, v89, v105, v4
	v_pk_fma_f16 v5, v86, v105, v5
	v_pack_b32_f16 v10, v4, v5
	v_perm_b32 v4, v5, v4, s38
	v_pk_add_f16 v4, v10, v4
	v_pk_fma_f16 v15, v4, v18, v15
	v_pk_fma_f16 v4, v7, v90, 0
	;; [unrolled: 1-line block ×33, first 2 shown]
	v_pack_b32_f16 v1, v4, v0
	v_perm_b32 v0, v0, v4, s38
	v_pk_add_f16 v0, v1, v0
	v_pk_add_f16 v82, v82, v84
	v_pk_fma_f16 v13, v0, v19, v13
	v_mov_b32_e32 v0, s30
	s_add_i32 s21, s21, 64
	v_pk_fma_f16 v20, v82, v19, v20
	s_cmp_ge_i32 s25, s26
	v_addc_co_u32_e64 v17, s[6:7], v17, v0, s[6:7]
	s_cbranch_scc1 .LBB28_48
.LBB28_31:                              ; =>This Inner Loop Header: Depth=1
	s_cmp_lg_u32 s25, s29
	s_cbranch_scc1 .LBB28_30
; %bb.32:                               ;   in Loop: Header=BB28_31 Depth=1
	s_add_i32 s28, s28, 1
	s_mul_i32 s39, s28, s20
	s_ashr_i32 s6, s39, 31
	s_lshr_b32 s6, s6, 27
	s_add_i32 s6, s39, s6
	s_ashr_i32 s6, s6, 5
	v_mad_u64_u32 v[0:1], s[6:7], s6, 3, v[14:15]
	v_ashrrev_i32_e32 v1, 31, v0
	v_lshlrev_b64 v[0:1], 2, v[0:1]
	v_mov_b32_e32 v2, s15
	v_add_co_u32_e64 v0, s[6:7], s14, v0
	v_addc_co_u32_e64 v1, s[6:7], v2, v1, s[6:7]
	global_load_dword v3, v[0:1], off
                                        ; implicit-def: $vgpr2
	s_and_saveexec_b64 s[6:7], vcc
	s_xor_b64 s[6:7], exec, s[6:7]
	s_cbranch_execz .LBB28_46
; %bb.33:                               ;   in Loop: Header=BB28_31 Depth=1
                                        ; implicit-def: $vgpr2
	s_and_saveexec_b64 s[10:11], s[0:1]
	s_xor_b64 s[10:11], exec, s[10:11]
	s_cbranch_execz .LBB28_43
; %bb.34:                               ;   in Loop: Header=BB28_31 Depth=1
                                        ; implicit-def: $vgpr2
	s_and_saveexec_b64 s[12:13], s[2:3]
	;; [unrolled: 5-line block ×3, first 2 shown]
	s_xor_b64 s[22:23], exec, s[22:23]
	s_cbranch_execz .LBB28_37
; %bb.36:                               ;   in Loop: Header=BB28_31 Depth=1
	s_waitcnt vmcnt(0)
	v_lshrrev_b32_e32 v2, v28, v3
                                        ; implicit-def: $vgpr0_vgpr1
                                        ; implicit-def: $vgpr3
.LBB28_37:                              ;   in Loop: Header=BB28_31 Depth=1
	s_andn2_saveexec_b64 s[22:23], s[22:23]
	s_cbranch_execz .LBB28_39
; %bb.38:                               ;   in Loop: Header=BB28_31 Depth=1
	global_load_dword v0, v[0:1], off offset:4
	s_waitcnt vmcnt(0)
	v_alignbit_b32 v0, v0, v3, 28
	v_and_b32_e32 v2, 0xfff, v0
.LBB28_39:                              ;   in Loop: Header=BB28_31 Depth=1
	s_or_b64 exec, exec, s[22:23]
                                        ; implicit-def: $vgpr3
.LBB28_40:                              ;   in Loop: Header=BB28_31 Depth=1
	s_andn2_saveexec_b64 s[12:13], s[12:13]
	s_cbranch_execz .LBB28_42
; %bb.41:                               ;   in Loop: Header=BB28_31 Depth=1
	s_waitcnt vmcnt(0)
	v_lshrrev_b32_e32 v2, v29, v3
.LBB28_42:                              ;   in Loop: Header=BB28_31 Depth=1
	s_or_b64 exec, exec, s[12:13]
                                        ; implicit-def: $vgpr0_vgpr1
                                        ; implicit-def: $vgpr3
.LBB28_43:                              ;   in Loop: Header=BB28_31 Depth=1
	s_andn2_saveexec_b64 s[10:11], s[10:11]
	s_cbranch_execz .LBB28_45
; %bb.44:                               ;   in Loop: Header=BB28_31 Depth=1
	global_load_dword v0, v[0:1], off offset:4
	s_waitcnt vmcnt(0)
	v_perm_b32 v0, v3, v0, s33
	v_and_b32_e32 v2, 0xfff, v0
.LBB28_45:                              ;   in Loop: Header=BB28_31 Depth=1
	s_or_b64 exec, exec, s[10:11]
                                        ; implicit-def: $vgpr3
.LBB28_46:                              ;   in Loop: Header=BB28_31 Depth=1
	s_andn2_saveexec_b64 s[6:7], s[6:7]
	s_cbranch_execz .LBB28_29
; %bb.47:                               ;   in Loop: Header=BB28_31 Depth=1
	s_waitcnt vmcnt(0)
	v_lshrrev_b32_e32 v2, v22, v3
	s_branch .LBB28_29
.LBB28_48:
	s_mul_i32 s24, s24, s20
	v_add_u32_e32 v0, s24, v12
	v_ashrrev_i32_e32 v1, 31, v0
	v_lshlrev_b64 v[2:3], 1, v[0:1]
	v_mov_b32_e32 v1, s19
	v_add_co_u32_e32 v2, vcc, s18, v2
	v_addc_co_u32_e32 v3, vcc, v1, v3, vcc
	global_load_dword v5, v[2:3], off
	s_mov_b64 s[0:1], 0
.LBB28_49:                              ; =>This Inner Loop Header: Depth=1
	s_waitcnt vmcnt(0)
	v_pk_add_f16 v4, v26, v5
	global_atomic_cmpswap v1, v[2:3], v[4:5], off glc
	s_waitcnt vmcnt(0)
	v_cmp_eq_u32_e32 vcc, v5, v1
	s_or_b64 s[0:1], vcc, s[0:1]
	v_mov_b32_e32 v5, v1
	s_andn2_b64 exec, exec, s[0:1]
	s_cbranch_execnz .LBB28_49
; %bb.50:
	s_or_b64 exec, exec, s[0:1]
	global_load_dword v5, v[2:3], off offset:4
	s_mov_b64 s[0:1], 0
.LBB28_51:                              ; =>This Inner Loop Header: Depth=1
	s_waitcnt vmcnt(0)
	v_pk_add_f16 v4, v25, v5
	global_atomic_cmpswap v1, v[2:3], v[4:5], off offset:4 glc
	s_waitcnt vmcnt(0)
	v_cmp_eq_u32_e32 vcc, v5, v1
	s_or_b64 s[0:1], vcc, s[0:1]
	v_mov_b32_e32 v5, v1
	s_andn2_b64 exec, exec, s[0:1]
	s_cbranch_execnz .LBB28_51
; %bb.52:
	s_or_b64 exec, exec, s[0:1]
	v_add_u32_e32 v0, s20, v0
	v_ashrrev_i32_e32 v1, 31, v0
	v_lshlrev_b64 v[2:3], 1, v[0:1]
	v_mov_b32_e32 v1, s19
	v_add_co_u32_e32 v2, vcc, s18, v2
	v_addc_co_u32_e32 v3, vcc, v1, v3, vcc
	global_load_dword v5, v[2:3], off
	s_mov_b64 s[0:1], 0
.LBB28_53:                              ; =>This Inner Loop Header: Depth=1
	s_waitcnt vmcnt(0)
	v_pk_add_f16 v4, v24, v5
	global_atomic_cmpswap v1, v[2:3], v[4:5], off glc
	s_waitcnt vmcnt(0)
	v_cmp_eq_u32_e32 vcc, v5, v1
	s_or_b64 s[0:1], vcc, s[0:1]
	v_mov_b32_e32 v5, v1
	s_andn2_b64 exec, exec, s[0:1]
	s_cbranch_execnz .LBB28_53
; %bb.54:
	s_or_b64 exec, exec, s[0:1]
	global_load_dword v5, v[2:3], off offset:4
	s_mov_b64 s[0:1], 0
.LBB28_55:                              ; =>This Inner Loop Header: Depth=1
	s_waitcnt vmcnt(0)
	v_pk_add_f16 v4, v23, v5
	global_atomic_cmpswap v1, v[2:3], v[4:5], off offset:4 glc
	s_waitcnt vmcnt(0)
	v_cmp_eq_u32_e32 vcc, v5, v1
	s_or_b64 s[0:1], vcc, s[0:1]
	v_mov_b32_e32 v5, v1
	s_andn2_b64 exec, exec, s[0:1]
	s_cbranch_execnz .LBB28_55
; %bb.56:
	s_or_b64 exec, exec, s[0:1]
	;; [unrolled: 34-line block ×3, first 2 shown]
	v_add_u32_e32 v0, s20, v0
	v_ashrrev_i32_e32 v1, 31, v0
	v_lshlrev_b64 v[0:1], 1, v[0:1]
	v_mov_b32_e32 v2, s19
	v_add_co_u32_e32 v0, vcc, s18, v0
	v_addc_co_u32_e32 v1, vcc, v2, v1, vcc
	global_load_dword v3, v[0:1], off
	s_mov_b64 s[0:1], 0
.LBB28_61:                              ; =>This Inner Loop Header: Depth=1
	s_waitcnt vmcnt(0)
	v_pk_add_f16 v2, v15, v3
	global_atomic_cmpswap v2, v[0:1], v[2:3], off glc
	s_waitcnt vmcnt(0)
	v_cmp_eq_u32_e32 vcc, v3, v2
	s_or_b64 s[0:1], vcc, s[0:1]
	v_mov_b32_e32 v3, v2
	s_andn2_b64 exec, exec, s[0:1]
	s_cbranch_execnz .LBB28_61
; %bb.62:
	s_or_b64 exec, exec, s[0:1]
	global_load_dword v3, v[0:1], off offset:4
	s_mov_b64 s[0:1], 0
.LBB28_63:                              ; =>This Inner Loop Header: Depth=1
	s_waitcnt vmcnt(0)
	v_pk_add_f16 v2, v13, v3
	global_atomic_cmpswap v2, v[0:1], v[2:3], off offset:4 glc
	s_waitcnt vmcnt(0)
	v_cmp_eq_u32_e32 vcc, v3, v2
	s_or_b64 s[0:1], vcc, s[0:1]
	v_mov_b32_e32 v3, v2
	s_andn2_b64 exec, exec, s[0:1]
	s_cbranch_execnz .LBB28_63
.LBB28_64:
	s_endpgm
	.section	.rodata,"a",@progbits
	.p2align	6, 0x0
	.amdhsa_kernel _ZN4vllm4gptq33gemm_half_q_half_gptq_3bit_kernelILb1ELi4EEEvPK6__halfPKjS6_S4_PS2_iiiibPKi
		.amdhsa_group_segment_fixed_size 1024
		.amdhsa_private_segment_fixed_size 0
		.amdhsa_kernarg_size 72
		.amdhsa_user_sgpr_count 6
		.amdhsa_user_sgpr_private_segment_buffer 1
		.amdhsa_user_sgpr_dispatch_ptr 0
		.amdhsa_user_sgpr_queue_ptr 0
		.amdhsa_user_sgpr_kernarg_segment_ptr 1
		.amdhsa_user_sgpr_dispatch_id 0
		.amdhsa_user_sgpr_flat_scratch_init 0
		.amdhsa_user_sgpr_kernarg_preload_length 0
		.amdhsa_user_sgpr_kernarg_preload_offset 0
		.amdhsa_user_sgpr_private_segment_size 0
		.amdhsa_uses_dynamic_stack 0
		.amdhsa_system_sgpr_private_segment_wavefront_offset 0
		.amdhsa_system_sgpr_workgroup_id_x 1
		.amdhsa_system_sgpr_workgroup_id_y 1
		.amdhsa_system_sgpr_workgroup_id_z 1
		.amdhsa_system_sgpr_workgroup_info 0
		.amdhsa_system_vgpr_workitem_id 0
		.amdhsa_next_free_vgpr 114
		.amdhsa_next_free_sgpr 40
		.amdhsa_accum_offset 116
		.amdhsa_reserve_vcc 1
		.amdhsa_reserve_flat_scratch 0
		.amdhsa_float_round_mode_32 0
		.amdhsa_float_round_mode_16_64 0
		.amdhsa_float_denorm_mode_32 3
		.amdhsa_float_denorm_mode_16_64 3
		.amdhsa_dx10_clamp 1
		.amdhsa_ieee_mode 1
		.amdhsa_fp16_overflow 0
		.amdhsa_tg_split 0
		.amdhsa_exception_fp_ieee_invalid_op 0
		.amdhsa_exception_fp_denorm_src 0
		.amdhsa_exception_fp_ieee_div_zero 0
		.amdhsa_exception_fp_ieee_overflow 0
		.amdhsa_exception_fp_ieee_underflow 0
		.amdhsa_exception_fp_ieee_inexact 0
		.amdhsa_exception_int_div_zero 0
	.end_amdhsa_kernel
	.section	.text._ZN4vllm4gptq33gemm_half_q_half_gptq_3bit_kernelILb1ELi4EEEvPK6__halfPKjS6_S4_PS2_iiiibPKi,"axG",@progbits,_ZN4vllm4gptq33gemm_half_q_half_gptq_3bit_kernelILb1ELi4EEEvPK6__halfPKjS6_S4_PS2_iiiibPKi,comdat
.Lfunc_end28:
	.size	_ZN4vllm4gptq33gemm_half_q_half_gptq_3bit_kernelILb1ELi4EEEvPK6__halfPKjS6_S4_PS2_iiiibPKi, .Lfunc_end28-_ZN4vllm4gptq33gemm_half_q_half_gptq_3bit_kernelILb1ELi4EEEvPK6__halfPKjS6_S4_PS2_iiiibPKi
                                        ; -- End function
	.section	.AMDGPU.csdata,"",@progbits
; Kernel info:
; codeLenInByte = 7304
; NumSgprs: 44
; NumVgprs: 114
; NumAgprs: 0
; TotalNumVgprs: 114
; ScratchSize: 0
; MemoryBound: 0
; FloatMode: 240
; IeeeMode: 1
; LDSByteSize: 1024 bytes/workgroup (compile time only)
; SGPRBlocks: 5
; VGPRBlocks: 14
; NumSGPRsForWavesPerEU: 44
; NumVGPRsForWavesPerEU: 114
; AccumOffset: 116
; Occupancy: 4
; WaveLimiterHint : 0
; COMPUTE_PGM_RSRC2:SCRATCH_EN: 0
; COMPUTE_PGM_RSRC2:USER_SGPR: 6
; COMPUTE_PGM_RSRC2:TRAP_HANDLER: 0
; COMPUTE_PGM_RSRC2:TGID_X_EN: 1
; COMPUTE_PGM_RSRC2:TGID_Y_EN: 1
; COMPUTE_PGM_RSRC2:TGID_Z_EN: 1
; COMPUTE_PGM_RSRC2:TIDIG_COMP_CNT: 0
; COMPUTE_PGM_RSRC3_GFX90A:ACCUM_OFFSET: 28
; COMPUTE_PGM_RSRC3_GFX90A:TG_SPLIT: 0
	.section	.text._ZN4vllm4gptq33gemm_half_q_half_gptq_4bit_kernelILb1ELi4EEEvPK6__halfPKjS6_S4_PS2_iiiibPKi,"axG",@progbits,_ZN4vllm4gptq33gemm_half_q_half_gptq_4bit_kernelILb1ELi4EEEvPK6__halfPKjS6_S4_PS2_iiiibPKi,comdat
	.protected	_ZN4vllm4gptq33gemm_half_q_half_gptq_4bit_kernelILb1ELi4EEEvPK6__halfPKjS6_S4_PS2_iiiibPKi ; -- Begin function _ZN4vllm4gptq33gemm_half_q_half_gptq_4bit_kernelILb1ELi4EEEvPK6__halfPKjS6_S4_PS2_iiiibPKi
	.globl	_ZN4vllm4gptq33gemm_half_q_half_gptq_4bit_kernelILb1ELi4EEEvPK6__halfPKjS6_S4_PS2_iiiibPKi
	.p2align	8
	.type	_ZN4vllm4gptq33gemm_half_q_half_gptq_4bit_kernelILb1ELi4EEEvPK6__halfPKjS6_S4_PS2_iiiibPKi,@function
_ZN4vllm4gptq33gemm_half_q_half_gptq_4bit_kernelILb1ELi4EEEvPK6__halfPKjS6_S4_PS2_iiiibPKi: ; @_ZN4vllm4gptq33gemm_half_q_half_gptq_4bit_kernelILb1ELi4EEEvPK6__halfPKjS6_S4_PS2_iiiibPKi
; %bb.0:
	s_load_dwordx8 s[12:19], s[4:5], 0x8
	s_load_dwordx4 s[20:23], s[4:5], 0x2c
	s_lshl_b32 s24, s8, 7
	s_add_i32 s0, s24, 0x80
	v_cvt_f64_u32_e32 v[2:3], s0
	s_lshl_b32 s7, s7, 2
	s_waitcnt lgkmcnt(0)
	v_cvt_f64_i32_e32 v[4:5], s21
	v_min_f64 v[2:3], v[2:3], v[4:5]
	v_cvt_i32_f64_e32 v1, v[2:3]
	v_add_u32_e32 v2, s24, v0
	v_readfirstlane_b32 s25, v1
	v_cmp_lt_u32_e32 vcc, v2, v1
	s_and_saveexec_b64 s[2:3], vcc
	s_cbranch_execz .LBB29_10
; %bb.1:
	s_load_dwordx2 s[0:1], s[4:5], 0x40
	s_load_dwordx2 s[8:9], s[4:5], 0x0
	v_mov_b32_e32 v3, 0
	v_lshlrev_b64 v[4:5], 2, v[2:3]
	v_pk_mov_b32 v[6:7], v[2:3], v[2:3] op_sel:[0,1]
	s_waitcnt lgkmcnt(0)
	s_cmp_lg_u64 s[0:1], 0
	v_mov_b32_e32 v1, s1
	v_add_co_u32_e32 v4, vcc, s0, v4
	s_cselect_b64 s[4:5], -1, 0
	s_cmp_eq_u64 s[0:1], 0
	v_addc_co_u32_e32 v5, vcc, v1, v5, vcc
	s_cbranch_scc1 .LBB29_3
; %bb.2:
	global_load_dword v6, v[4:5], off
	s_waitcnt vmcnt(0)
	v_ashrrev_i32_e32 v7, 31, v6
.LBB29_3:
	s_mul_i32 s10, s7, s21
	s_ashr_i32 s11, s10, 31
	s_lshl_b64 s[0:1], s[10:11], 1
	s_add_u32 s0, s8, s0
	s_addc_u32 s1, s9, s1
	v_lshlrev_b64 v[6:7], 1, v[6:7]
	v_mov_b32_e32 v1, s1
	v_add_co_u32_e32 v6, vcc, s0, v6
	v_addc_co_u32_e32 v7, vcc, v1, v7, vcc
	global_load_ushort v6, v[6:7], off
	v_lshlrev_b32_e32 v1, 1, v0
	v_cndmask_b32_e64 v7, 0, 1, s[4:5]
	v_cmp_ne_u32_e64 s[0:1], 1, v7
	s_andn2_b64 vcc, exec, s[4:5]
	s_waitcnt vmcnt(0)
	ds_write_b16 v1, v6
	v_pk_mov_b32 v[6:7], v[2:3], v[2:3] op_sel:[0,1]
	s_cbranch_vccnz .LBB29_5
; %bb.4:
	global_load_dword v6, v[4:5], off
	s_waitcnt vmcnt(0)
	v_ashrrev_i32_e32 v7, 31, v6
.LBB29_5:
	s_add_i32 s4, s10, s21
	s_ashr_i32 s5, s4, 31
	s_lshl_b64 s[10:11], s[4:5], 1
	s_add_u32 s5, s8, s10
	s_addc_u32 s10, s9, s11
	v_lshlrev_b64 v[6:7], 1, v[6:7]
	v_mov_b32_e32 v8, s10
	v_add_co_u32_e32 v6, vcc, s5, v6
	v_addc_co_u32_e32 v7, vcc, v8, v7, vcc
	global_load_ushort v6, v[6:7], off
	s_and_b64 vcc, exec, s[0:1]
	s_waitcnt vmcnt(0)
	ds_write_b16 v1, v6 offset:256
	v_pk_mov_b32 v[6:7], v[2:3], v[2:3] op_sel:[0,1]
	s_cbranch_vccnz .LBB29_7
; %bb.6:
	global_load_dword v6, v[4:5], off
	s_waitcnt vmcnt(0)
	v_ashrrev_i32_e32 v7, 31, v6
.LBB29_7:
	s_add_i32 s4, s4, s21
	s_ashr_i32 s5, s4, 31
	s_lshl_b64 s[10:11], s[4:5], 1
	s_add_u32 s5, s8, s10
	s_addc_u32 s10, s9, s11
	v_lshlrev_b64 v[6:7], 1, v[6:7]
	v_mov_b32_e32 v8, s10
	v_add_co_u32_e32 v6, vcc, s5, v6
	v_addc_co_u32_e32 v7, vcc, v8, v7, vcc
	global_load_ushort v6, v[6:7], off
	s_and_b64 vcc, exec, s[0:1]
	s_waitcnt vmcnt(0)
	ds_write_b16 v1, v6 offset:512
	s_cbranch_vccnz .LBB29_9
; %bb.8:
	global_load_dword v2, v[4:5], off
	s_waitcnt vmcnt(0)
	v_ashrrev_i32_e32 v3, 31, v2
.LBB29_9:
	s_add_i32 s0, s4, s21
	s_ashr_i32 s1, s0, 31
	s_lshl_b64 s[0:1], s[0:1], 1
	s_add_u32 s0, s8, s0
	s_addc_u32 s1, s9, s1
	v_lshlrev_b64 v[2:3], 1, v[2:3]
	v_mov_b32_e32 v4, s1
	v_add_co_u32_e32 v2, vcc, s0, v2
	v_addc_co_u32_e32 v3, vcc, v4, v3, vcc
	global_load_ushort v2, v[2:3], off
	s_waitcnt vmcnt(0)
	ds_write_b16 v1, v2 offset:768
.LBB29_10:
	s_or_b64 exec, exec, s[2:3]
	v_lshlrev_b32_e32 v1, 2, v0
	v_lshl_add_u32 v8, s6, 9, v1
	v_cmp_gt_i32_e32 vcc, s20, v8
	s_and_saveexec_b64 s[0:1], vcc
	s_cbranch_execz .LBB29_33
; %bb.11:
	s_abs_i32 s0, s22
	v_cvt_f32_u32_e32 v1, s0
	s_mov_b32 s4, 0
	v_mov_b32_e32 v21, 0
	v_mov_b32_e32 v20, 0
	v_rcp_iflag_f32_e32 v1, v1
	v_mov_b32_e32 v19, 0
	v_mov_b32_e32 v18, 0
	s_cmp_ge_i32 s24, s25
	v_mul_f32_e32 v1, 0x4f7ffffe, v1
	v_cvt_u32_f32_e32 v1, v1
	v_mov_b32_e32 v10, 0
	v_mov_b32_e32 v9, 0
	;; [unrolled: 1-line block ×3, first 2 shown]
	v_readfirstlane_b32 s1, v1
	v_mov_b32_e32 v6, 0
	s_waitcnt lgkmcnt(0)
	s_barrier
	s_cbranch_scc1 .LBB29_17
; %bb.12:
	s_sub_i32 s6, 0, s0
	s_mul_i32 s6, s6, s1
	s_mul_hi_u32 s6, s1, s6
	s_abs_i32 s5, s21
	s_add_i32 s1, s1, s6
	s_ashr_i32 s2, s21, 31
	s_ashr_i32 s3, s22, 31
	s_mul_hi_u32 s1, s5, s1
	s_xor_b32 s2, s2, s3
	s_mul_i32 s3, s1, s0
	s_sub_i32 s3, s5, s3
	s_add_i32 s5, s1, 1
	s_sub_i32 s6, s3, s0
	s_cmp_ge_u32 s3, s0
	s_cselect_b32 s1, s5, s1
	s_cselect_b32 s3, s6, s3
	s_add_i32 s5, s1, 1
	s_cmp_ge_u32 s3, s0
	s_cselect_b32 s0, s5, s1
	s_xor_b32 s0, s0, s2
	s_sub_i32 s5, s0, s2
	v_cvt_f32_u32_e32 v1, s5
	s_bitcmp1_b32 s23, 0
	s_cselect_b64 s[0:1], -1, 0
	s_sub_i32 s2, 0, s5
	v_rcp_iflag_f32_e32 v1, v1
	s_xor_b64 s[0:1], s[0:1], -1
	v_ashrrev_i32_e32 v9, 31, v8
	v_lshrrev_b32_e32 v2, 29, v9
	v_mul_f32_e32 v1, 0x4f7ffffe, v1
	v_cvt_u32_f32_e32 v1, v1
	v_add_u32_e32 v2, v8, v2
	v_ashrrev_i32_e32 v68, 3, v2
	v_mov_b32_e32 v10, 0
	v_readfirstlane_b32 s3, v1
	s_mul_i32 s2, s2, s3
	s_mul_hi_u32 s2, s3, s2
	s_add_i32 s3, s3, s2
	s_mul_hi_u32 s2, s24, s3
	s_mul_i32 s3, s2, s5
	s_sub_i32 s3, s24, s3
	s_add_i32 s6, s2, 1
	s_sub_i32 s8, s3, s5
	s_cmp_ge_u32 s3, s5
	s_cselect_b32 s2, s6, s2
	s_cselect_b32 s3, s8, s3
	s_add_i32 s6, s2, 1
	s_cmp_ge_u32 s3, s5
	s_cselect_b32 s6, s6, s2
	s_mul_i32 s2, s6, s20
	s_ashr_i32 s3, s2, 31
	s_lshr_b32 s3, s3, 29
	v_add_u32_e32 v2, s2, v8
	s_add_i32 s2, s2, s3
	v_ashrrev_i32_e32 v3, 31, v2
	s_ashr_i32 s2, s2, 3
	v_lshlrev_b64 v[2:3], 1, v[2:3]
	v_add_u32_e32 v4, s2, v68
	v_mov_b32_e32 v1, s17
	v_add_co_u32_e32 v2, vcc, s16, v2
	v_ashrrev_i32_e32 v5, 31, v4
	v_addc_co_u32_e32 v3, vcc, v1, v3, vcc
	v_lshlrev_b64 v[4:5], 2, v[4:5]
	v_mov_b32_e32 v1, s15
	v_add_co_u32_e32 v4, vcc, s14, v4
	v_addc_co_u32_e32 v5, vcc, v1, v5, vcc
	global_load_dword v4, v[4:5], off
	v_lshlrev_b32_e32 v5, 4, v0
	global_load_dwordx2 v[2:3], v[2:3], off
	v_lshlrev_b64 v[0:1], 2, v[8:9]
	v_cndmask_b32_e64 v9, 0, 1, s[0:1]
	s_lshr_b32 s0, s24, 3
	s_mul_i32 s0, s0, s20
	s_ashr_i32 s1, s0, 31
	s_lshl_b64 s[0:1], s[0:1], 2
	s_add_u32 s11, s12, s0
	s_addc_u32 s0, s13, s1
	v_and_b32_e32 v69, 16, v5
	v_mov_b32_e32 v6, s0
	v_add_co_u32_e32 v20, vcc, s11, v0
	v_addc_co_u32_e32 v21, vcc, v6, v1, vcc
	s_mov_b32 s8, 0x5040100
	s_ashr_i32 s21, s20, 31
	s_movk_i32 s9, 0x2c00
	v_mov_b32_e32 v11, v10
	v_mov_b32_e32 v14, v10
	;; [unrolled: 1-line block ×10, first 2 shown]
	s_add_i32 s10, s5, s24
	s_lshl_b64 s[0:1], s[20:21], 4
	s_lshl_b64 s[2:3], s[20:21], 2
	v_mov_b32_e32 v23, v10
	v_mov_b32_e32 v28, v10
	;; [unrolled: 1-line block ×5, first 2 shown]
	s_waitcnt vmcnt(1)
	v_lshrrev_b32_e32 v0, v5, v4
	v_bfe_u32 v1, v4, v69, 4
	s_waitcnt vmcnt(0)
	v_cvt_f32_f16_e32 v24, v2
	v_cvt_f32_f16_sdwa v25, v2 dst_sel:DWORD dst_unused:UNUSED_PAD src0_sel:WORD_1
	v_cvt_f32_f16_e32 v26, v3
	v_cvt_f32_f16_sdwa v27, v3 dst_sel:DWORD dst_unused:UNUSED_PAD src0_sel:WORD_1
	v_bfe_u32 v2, v0, 12, 4
	v_bfe_u32 v3, v0, 8, 4
	;; [unrolled: 1-line block ×3, first 2 shown]
	v_add_u32_e32 v1, v1, v9
	v_add_u32_e32 v2, v2, v9
	;; [unrolled: 1-line block ×4, first 2 shown]
	v_cvt_f32_ubyte0_e32 v4, v1
	v_or_b32_e32 v1, 0xffffe400, v1
	v_cvt_f32_ubyte0_e32 v5, v2
	v_or_b32_e32 v2, 0xffffe400, v2
	;; [unrolled: 2-line block ×3, first 2 shown]
	v_cvt_f32_ubyte0_e32 v7, v0
	v_cvt_f16_f32_e32 v4, v4
	v_perm_b32 v70, v1, v1, s8
	v_cvt_f16_f32_e32 v1, v5
	v_perm_b32 v73, v2, v2, s8
	;; [unrolled: 2-line block ×3, first 2 shown]
	v_cvt_f16_f32_e32 v3, v7
	v_or_b32_e32 v0, 0xffffe400, v0
	v_perm_b32 v71, v0, v0, s8
	v_sub_f16_e32 v0, 0xd400, v4
	v_sub_f16_e32 v1, 0xd400, v1
	;; [unrolled: 1-line block ×4, first 2 shown]
	v_pack_b32_f16 v74, v0, v0
	v_pack_b32_f16 v77, v1, v1
	;; [unrolled: 1-line block ×4, first 2 shown]
	s_branch .LBB29_14
.LBB29_13:                              ;   in Loop: Header=BB29_14 Depth=1
	global_load_dwordx4 v[0:3], v[20:21], off
	v_mov_b32_e32 v5, s3
	v_add_co_u32_e32 v32, vcc, s2, v20
	v_addc_co_u32_e32 v33, vcc, v21, v5, vcc
	v_add_co_u32_e32 v64, vcc, s2, v32
	v_addc_co_u32_e32 v65, vcc, v33, v5, vcc
	v_add_co_u32_e32 v4, vcc, s2, v64
	v_mov_b32_e32 v78, s4
	v_addc_co_u32_e32 v5, vcc, v65, v5, vcc
	ds_read2_b32 v[50:51], v78 offset1:1
	ds_read2_b32 v[44:45], v78 offset0:2 offset1:3
	ds_read2_b32 v[38:39], v78 offset0:4 offset1:5
	;; [unrolled: 1-line block ×15, first 2 shown]
	global_load_dwordx4 v[4:7], v[4:5], off
	s_add_i32 s24, s24, 32
	global_load_dwordx4 v[88:91], v[32:33], off
	s_add_i32 s4, s4, 64
	v_add_co_u32_e32 v20, vcc, s0, v20
	s_cmp_ge_i32 s24, s25
	s_waitcnt vmcnt(2)
	v_and_b32_e32 v79, 0xf000f, v0
	v_and_b32_e32 v81, 0xf000f, v1
	;; [unrolled: 1-line block ×8, first 2 shown]
	v_or_b32_e32 v79, 0x64006400, v79
	v_or_b32_e32 v81, 0x64006400, v81
	;; [unrolled: 1-line block ×8, first 2 shown]
	v_pk_add_f16 v79, v70, v79
	v_pk_add_f16 v81, v71, v81
	v_pk_add_f16 v83, v72, v83
	v_pk_add_f16 v85, v73, v85
	v_pk_fma_f16 v80, v80, s9, v74 op_sel_hi:[1,0,1]
	v_pk_fma_f16 v82, v82, s9, v75 op_sel_hi:[1,0,1]
	;; [unrolled: 1-line block ×4, first 2 shown]
	s_waitcnt lgkmcnt(14)
	v_pk_fma_f16 v87, v79, v50, 0
	v_pk_fma_f16 v92, v81, v50, 0
	v_pk_fma_f16 v93, v83, v50, 0
	v_pk_fma_f16 v50, v85, v50, 0
	s_waitcnt lgkmcnt(11)
	v_pk_fma_f16 v94, v79, v52, 0
	v_pk_fma_f16 v95, v81, v52, 0
	v_pk_fma_f16 v96, v83, v52, 0
	v_pk_fma_f16 v52, v85, v52, 0
	;; [unrolled: 5-line block ×3, first 2 shown]
	v_pk_fma_f16 v54, v80, v51, v87
	v_pk_fma_f16 v87, v82, v51, v92
	;; [unrolled: 1-line block ×12, first 2 shown]
	s_waitcnt lgkmcnt(3)
	v_pk_fma_f16 v55, v79, v66, 0
	v_pk_fma_f16 v79, v81, v66, 0
	v_lshrrev_b32_e32 v0, 8, v0
	v_pk_fma_f16 v96, v82, v67, v79
	v_pk_fma_f16 v79, v83, v66, 0
	;; [unrolled: 1-line block ×4, first 2 shown]
	v_and_b32_e32 v66, 0xf000f, v0
	v_lshrrev_b32_e32 v1, 8, v1
	v_or_b32_e32 v66, 0x64006400, v66
	v_pk_add_f16 v99, v70, v66
	v_and_b32_e32 v66, 0xf000f, v1
	v_lshrrev_b32_e32 v2, 8, v2
	v_or_b32_e32 v66, 0x64006400, v66
	v_pk_add_f16 v100, v71, v66
	v_and_b32_e32 v66, 0xf000f, v2
	v_lshrrev_b32_e32 v3, 8, v3
	v_and_b32_e32 v0, 0xf000f0, v0
	v_or_b32_e32 v66, 0x64006400, v66
	v_or_b32_e32 v0, 0x64006400, v0
	v_and_b32_e32 v1, 0xf000f0, v1
	v_pk_add_f16 v101, v72, v66
	v_and_b32_e32 v66, 0xf000f, v3
	v_pk_fma_f16 v0, v0, s9, v74 op_sel_hi:[1,0,1]
	v_or_b32_e32 v1, 0x64006400, v1
	v_or_b32_e32 v66, 0x64006400, v66
	v_and_b32_e32 v3, 0xf000f0, v3
	v_pk_fma_f16 v54, v99, v44, v54
	v_pk_fma_f16 v1, v1, s9, v75 op_sel_hi:[1,0,1]
	v_or_b32_e32 v3, 0x64006400, v3
	v_pk_add_f16 v102, v73, v66
	v_pk_fma_f16 v85, v0, v45, v54
	v_pk_fma_f16 v54, v100, v44, v87
	v_pk_fma_f16 v3, v3, s9, v77 op_sel_hi:[1,0,1]
	v_pk_fma_f16 v86, v1, v45, v54
	v_pk_fma_f16 v54, v101, v44, v92
	;; [unrolled: 1-line block ×4, first 2 shown]
	v_and_b32_e32 v2, 0xf000f0, v2
	v_pk_fma_f16 v84, v3, v45, v44
	v_pk_fma_f16 v44, v99, v46, v51
	v_or_b32_e32 v2, 0x64006400, v2
	v_pk_fma_f16 v81, v0, v47, v44
	v_pk_fma_f16 v44, v100, v46, v93
	v_pk_fma_f16 v2, v2, s9, v76 op_sel_hi:[1,0,1]
	v_pk_fma_f16 v82, v1, v47, v44
	v_pk_fma_f16 v44, v101, v46, v94
	;; [unrolled: 1-line block ×11, first 2 shown]
	s_waitcnt lgkmcnt(2)
	v_pk_fma_f16 v32, v99, v62, v55
	v_pk_fma_f16 v66, v0, v49, v44
	;; [unrolled: 1-line block ×12, first 2 shown]
	global_load_dwordx4 v[0:3], v[64:65], off
	s_waitcnt vmcnt(1)
	v_and_b32_e32 v45, 0xf000f, v89
	v_and_b32_e32 v32, 0xf000f, v88
	;; [unrolled: 1-line block ×5, first 2 shown]
	v_or_b32_e32 v45, 0x64006400, v45
	v_and_b32_e32 v33, 0xf000f0, v88
	v_and_b32_e32 v55, 0xf000f0, v90
	;; [unrolled: 1-line block ×3, first 2 shown]
	v_or_b32_e32 v32, 0x64006400, v32
	v_or_b32_e32 v46, 0x64006400, v46
	v_pk_add_f16 v45, v71, v45
	v_or_b32_e32 v54, 0x64006400, v54
	v_or_b32_e32 v63, 0x64006400, v63
	v_lshrrev_b32_e32 v62, 8, v90
	v_or_b32_e32 v33, 0x64006400, v33
	v_pk_add_f16 v32, v70, v32
	v_pk_fma_f16 v46, v46, s9, v75 op_sel_hi:[1,0,1]
	v_or_b32_e32 v55, 0x64006400, v55
	v_pk_add_f16 v54, v72, v54
	v_or_b32_e32 v64, 0x64006400, v64
	v_pk_add_f16 v63, v73, v63
	v_pk_fma_f16 v90, v45, v40, 0
	v_lshrrev_b32_e32 v44, 8, v88
	v_lshrrev_b32_e32 v47, 8, v89
	v_pk_fma_f16 v33, v33, s9, v74 op_sel_hi:[1,0,1]
	v_pk_fma_f16 v55, v55, s9, v76 op_sel_hi:[1,0,1]
	;; [unrolled: 1-line block ×3, first 2 shown]
	v_pk_fma_f16 v87, v32, v38, 0
	v_pk_fma_f16 v88, v45, v38, 0
	;; [unrolled: 1-line block ×20, first 2 shown]
	s_waitcnt lgkmcnt(1)
	v_pk_fma_f16 v32, v32, v60, 0
	v_pk_fma_f16 v41, v33, v43, v41
	;; [unrolled: 1-line block ×8, first 2 shown]
	v_and_b32_e32 v60, 0xf000f0, v62
	v_lshrrev_b32_e32 v65, 8, v91
	v_pk_fma_f16 v33, v46, v61, v33
	v_and_b32_e32 v46, 0xf000f, v44
	v_or_b32_e32 v60, 0x64006400, v60
	v_or_b32_e32 v46, 0x64006400, v46
	v_and_b32_e32 v44, 0xf000f0, v44
	v_and_b32_e32 v54, 0xf000f, v47
	v_pk_fma_f16 v97, v60, s9, v76 op_sel_hi:[1,0,1]
	v_and_b32_e32 v60, 0xf000f, v65
	v_pk_fma_f16 v43, v55, v61, v43
	v_or_b32_e32 v44, 0x64006400, v44
	v_pk_add_f16 v46, v70, v46
	v_or_b32_e32 v54, 0x64006400, v54
	v_and_b32_e32 v47, 0xf000f0, v47
	v_and_b32_e32 v55, 0xf000f, v62
	v_or_b32_e32 v60, 0x64006400, v60
	v_pk_fma_f16 v45, v64, v61, v45
	v_pk_fma_f16 v44, v44, s9, v74 op_sel_hi:[1,0,1]
	v_or_b32_e32 v47, 0x64006400, v47
	v_pk_add_f16 v54, v71, v54
	v_or_b32_e32 v55, 0x64006400, v55
	v_and_b32_e32 v61, 0xf000f0, v65
	v_pk_add_f16 v98, v73, v60
	v_pk_fma_f16 v60, v46, v34, v87
	v_pk_fma_f16 v47, v47, s9, v75 op_sel_hi:[1,0,1]
	v_pk_add_f16 v55, v72, v55
	v_or_b32_e32 v61, 0x64006400, v61
	v_pk_fma_f16 v91, v44, v35, v60
	v_pk_fma_f16 v60, v54, v34, v88
	v_pk_fma_f16 v99, v61, s9, v77 op_sel_hi:[1,0,1]
	v_pk_fma_f16 v92, v47, v35, v60
	v_pk_fma_f16 v60, v55, v34, v89
	v_pk_fma_f16 v34, v98, v34, v38
	v_pk_fma_f16 v90, v99, v35, v34
	v_pk_fma_f16 v34, v46, v36, v39
	v_pk_fma_f16 v87, v44, v37, v34
	v_pk_fma_f16 v34, v54, v36, v93
	v_pk_fma_f16 v88, v47, v37, v34
	v_pk_fma_f16 v34, v55, v36, v94
	v_pk_fma_f16 v64, v97, v37, v34
	v_pk_fma_f16 v34, v98, v36, v40
	v_pk_fma_f16 v65, v99, v37, v34
	v_pk_fma_f16 v34, v46, v56, v41
	v_pk_fma_f16 v62, v44, v57, v34
	v_pk_fma_f16 v34, v54, v56, v95
	v_pk_fma_f16 v63, v47, v57, v34
	v_pk_fma_f16 v34, v55, v56, v96
	s_waitcnt lgkmcnt(0)
	v_pk_fma_f16 v32, v46, v58, v32
	v_pk_fma_f16 v89, v97, v35, v60
	;; [unrolled: 1-line block ×12, first 2 shown]
	s_waitcnt vmcnt(0)
	v_and_b32_e32 v32, 0xf000f, v0
	v_and_b32_e32 v33, 0xf000f0, v0
	v_lshrrev_b32_e32 v94, 8, v0
	v_and_b32_e32 v0, 0xf000f, v1
	v_and_b32_e32 v34, 0xf000f0, v1
	v_lshrrev_b32_e32 v93, 8, v1
	v_and_b32_e32 v1, 0xf000f, v2
	v_or_b32_e32 v0, 0x64006400, v0
	v_and_b32_e32 v35, 0xf000f0, v2
	v_lshrrev_b32_e32 v59, 8, v2
	v_and_b32_e32 v2, 0xf000f, v3
	v_pk_add_f16 v103, v71, v0
	v_or_b32_e32 v0, 0x64006400, v1
	v_or_b32_e32 v1, 0x64006400, v35
	v_pk_add_f16 v105, v72, v0
	v_or_b32_e32 v0, 0x64006400, v2
	v_pk_fma_f16 v106, v1, s9, v76 op_sel_hi:[1,0,1]
	v_pk_add_f16 v107, v73, v0
	ds_read2_b32 v[0:1], v78 offset0:8 offset1:9
	v_and_b32_e32 v36, 0xf000f0, v3
	v_lshrrev_b32_e32 v58, 8, v3
	v_or_b32_e32 v3, 0x64006400, v32
	v_or_b32_e32 v32, 0x64006400, v33
	v_pk_add_f16 v95, v70, v3
	v_or_b32_e32 v2, 0x64006400, v36
	v_pk_fma_f16 v102, v32, s9, v74 op_sel_hi:[1,0,1]
	v_or_b32_e32 v3, 0x64006400, v34
	v_pk_fma_f16 v108, v2, s9, v77 op_sel_hi:[1,0,1]
	s_waitcnt lgkmcnt(0)
	v_pk_fma_f16 v2, v95, v0, 0
	v_pk_fma_f16 v104, v3, s9, v75 op_sel_hi:[1,0,1]
	v_pk_fma_f16 v109, v102, v1, v2
	v_pk_fma_f16 v2, v103, v0, 0
	v_pk_fma_f16 v110, v104, v1, v2
	v_pk_fma_f16 v2, v105, v0, 0
	ds_read2_b32 v[44:45], v78 offset0:10 offset1:11
	ds_read2_b32 v[38:39], v78 offset0:12 offset1:13
	ds_read2_b32 v[32:33], v78 offset0:14 offset1:15
	v_pk_fma_f16 v111, v106, v1, v2
	ds_read2_b32 v[2:3], v78 offset0:72 offset1:73
	v_pk_fma_f16 v0, v107, v0, 0
	v_pk_fma_f16 v112, v108, v1, v0
	ds_read2_b32 v[46:47], v78 offset0:74 offset1:75
	ds_read2_b32 v[42:43], v78 offset0:76 offset1:77
	;; [unrolled: 1-line block ×3, first 2 shown]
	s_waitcnt lgkmcnt(3)
	v_pk_fma_f16 v0, v95, v2, 0
	v_pk_fma_f16 v113, v102, v3, v0
	;; [unrolled: 1-line block ×6, first 2 shown]
	ds_read2_b32 v[0:1], v78 offset0:136 offset1:137
	ds_read2_b32 v[96:97], v78 offset0:138 offset1:139
	ds_read2_b32 v[36:37], v78 offset0:140 offset1:141
	ds_read2_b32 v[34:35], v78 offset0:142 offset1:143
	ds_read2_b32 v[98:99], v78 offset0:200 offset1:201
	v_pk_fma_f16 v2, v107, v2, 0
	v_pk_fma_f16 v116, v108, v3, v2
	s_waitcnt lgkmcnt(4)
	v_pk_fma_f16 v2, v95, v0, 0
	v_pk_fma_f16 v117, v102, v1, v2
	v_pk_fma_f16 v2, v103, v0, 0
	v_pk_fma_f16 v118, v104, v1, v2
	v_pk_fma_f16 v2, v105, v0, 0
	v_pk_fma_f16 v0, v107, v0, 0
	v_pk_fma_f16 v119, v106, v1, v2
	v_pk_fma_f16 v120, v108, v1, v0
	ds_read2_b32 v[100:101], v78 offset0:202 offset1:203
	ds_read2_b32 v[2:3], v78 offset0:204 offset1:205
	;; [unrolled: 1-line block ×3, first 2 shown]
	s_waitcnt lgkmcnt(3)
	v_pk_fma_f16 v78, v95, v98, 0
	v_pk_fma_f16 v78, v102, v99, v78
	;; [unrolled: 1-line block ×8, first 2 shown]
	v_and_b32_e32 v99, 0xf000f, v94
	v_and_b32_e32 v103, 0xf000f, v93
	;; [unrolled: 1-line block ×4, first 2 shown]
	v_or_b32_e32 v99, 0x64006400, v99
	v_or_b32_e32 v103, 0x64006400, v103
	;; [unrolled: 1-line block ×4, first 2 shown]
	v_and_b32_e32 v58, 0xf000f0, v58
	v_and_b32_e32 v94, 0xf000f0, v94
	v_pk_add_f16 v99, v70, v99
	v_pk_add_f16 v103, v71, v103
	;; [unrolled: 1-line block ×3, first 2 shown]
	v_or_b32_e32 v58, 0x64006400, v58
	v_pk_add_f16 v105, v73, v105
	v_or_b32_e32 v94, 0x64006400, v94
	v_and_b32_e32 v93, 0xf000f0, v93
	v_pk_fma_f16 v58, v58, s9, v77 op_sel_hi:[1,0,1]
	v_pk_fma_f16 v106, v99, v44, v109
	v_pk_fma_f16 v107, v103, v44, v110
	;; [unrolled: 1-line block ×4, first 2 shown]
	v_pk_fma_f16 v94, v94, s9, v74 op_sel_hi:[1,0,1]
	v_or_b32_e32 v93, 0x64006400, v93
	v_and_b32_e32 v59, 0xf000f0, v59
	v_pk_fma_f16 v109, v58, v45, v44
	v_pk_fma_f16 v44, v99, v46, v113
	v_pk_fma_f16 v93, v93, s9, v75 op_sel_hi:[1,0,1]
	v_or_b32_e32 v59, 0x64006400, v59
	v_pk_fma_f16 v110, v94, v47, v44
	v_pk_fma_f16 v44, v103, v46, v114
	v_pk_fma_f16 v59, v59, s9, v76 op_sel_hi:[1,0,1]
	v_pk_fma_f16 v111, v93, v47, v44
	v_pk_fma_f16 v44, v104, v46, v115
	;; [unrolled: 1-line block ×13, first 2 shown]
	s_waitcnt lgkmcnt(2)
	v_pk_fma_f16 v44, v99, v100, v78
	v_pk_fma_f16 v46, v94, v101, v44
	;; [unrolled: 1-line block ×6, first 2 shown]
	v_cvt_f32_f16_e32 v95, v92
	v_cvt_f32_f16_e32 v94, v91
	v_cvt_f32_f16_sdwa v93, v92 dst_sel:DWORD dst_unused:UNUSED_PAD src0_sel:WORD_1
	v_cvt_f32_f16_sdwa v92, v91 dst_sel:DWORD dst_unused:UNUSED_PAD src0_sel:WORD_1
	v_pk_fma_f16 v108, v59, v45, v108
	v_pk_fma_f16 v45, v105, v100, v98
	v_lshrrev_b32_e32 v98, 8, v4
	v_pk_fma_f16 v44, v104, v100, v102
	v_pk_fma_f16 v45, v58, v101, v45
	v_and_b32_e32 v78, 0xf000f, v4
	v_and_b32_e32 v97, 0xf000f0, v4
	;; [unrolled: 1-line block ×4, first 2 shown]
	v_lshrrev_b32_e32 v104, 8, v6
	v_and_b32_e32 v105, 0xf000f, v7
	v_and_b32_e32 v117, 0xf000f0, v7
	v_cvt_f32_f16_e32 v4, v85
	v_cvt_f32_f16_sdwa v58, v85 dst_sel:DWORD dst_unused:UNUSED_PAD src0_sel:WORD_1
	v_lshrrev_b32_e32 v85, 8, v7
	v_pk_add_f32 v[6:7], v[94:95], v[92:93]
	v_and_b32_e32 v92, 0xf000f0, v98
	v_and_b32_e32 v99, 0xf000f, v5
	v_or_b32_e32 v78, 0x64006400, v78
	v_or_b32_e32 v92, 0x64006400, v92
	v_pk_fma_f16 v44, v59, v101, v44
	v_and_b32_e32 v100, 0xf000f0, v5
	v_lshrrev_b32_e32 v101, 8, v5
	v_cvt_f32_f16_e32 v5, v86
	v_cvt_f32_f16_sdwa v59, v86 dst_sel:DWORD dst_unused:UNUSED_PAD src0_sel:WORD_1
	v_or_b32_e32 v86, 0x64006400, v97
	v_and_b32_e32 v91, 0xf000f, v98
	v_pk_add_f16 v78, v70, v78
	v_pk_fma_f16 v97, v92, s9, v74 op_sel_hi:[1,0,1]
	v_or_b32_e32 v92, 0x64006400, v99
	v_or_b32_e32 v91, 0x64006400, v91
	v_pk_fma_f16 v86, v86, s9, v74 op_sel_hi:[1,0,1]
	v_pk_add_f16 v98, v71, v92
	v_pk_fma_f16 v92, v78, v38, 0
	v_pk_add_f16 v91, v70, v91
	v_and_b32_e32 v94, 0xf000f, v101
	v_pk_fma_f16 v92, v86, v39, v92
	v_or_b32_e32 v93, 0x64006400, v100
	v_or_b32_e32 v94, 0x64006400, v94
	v_pk_fma_f16 v92, v91, v32, v92
	v_and_b32_e32 v95, 0xf000f0, v101
	v_pk_fma_f16 v99, v93, s9, v75 op_sel_hi:[1,0,1]
	v_pk_add_f16 v100, v71, v94
	v_pk_fma_f16 v94, v97, v33, v92
	v_pk_fma_f16 v92, v98, v38, 0
	v_or_b32_e32 v95, 0x64006400, v95
	v_pk_fma_f16 v92, v99, v39, v92
	v_pk_add_f32 v[4:5], v[4:5], v[58:59]
	v_pk_fma_f16 v101, v95, s9, v75 op_sel_hi:[1,0,1]
	v_pk_fma_f16 v92, v100, v32, v92
	v_pk_fma_f32 v[4:5], v[4:5], v[24:25], v[30:31]
	v_cvt_f32_f16_e32 v31, v107
	v_cvt_f32_f16_e32 v30, v106
	v_cvt_f32_f16_sdwa v59, v107 dst_sel:DWORD dst_unused:UNUSED_PAD src0_sel:WORD_1
	v_cvt_f32_f16_sdwa v58, v106 dst_sel:DWORD dst_unused:UNUSED_PAD src0_sel:WORD_1
	v_pk_fma_f16 v95, v101, v33, v92
	v_cvt_f32_f16_e32 v93, v95
	v_cvt_f32_f16_e32 v92, v94
	v_cvt_f32_f16_sdwa v95, v95 dst_sel:DWORD dst_unused:UNUSED_PAD src0_sel:WORD_1
	v_cvt_f32_f16_sdwa v94, v94 dst_sel:DWORD dst_unused:UNUSED_PAD src0_sel:WORD_1
	v_pk_fma_f32 v[4:5], v[6:7], v[24:25], v[4:5]
	v_pk_add_f32 v[6:7], v[30:31], v[58:59]
	v_pk_fma_f32 v[4:5], v[6:7], v[24:25], v[4:5]
	v_pk_add_f32 v[6:7], v[92:93], v[94:95]
	v_pk_fma_f32 v[30:31], v[6:7], v[24:25], v[4:5]
	v_or_b32_e32 v4, 0x64006400, v102
	v_and_b32_e32 v6, 0xf000f, v104
	v_or_b32_e32 v5, 0x64006400, v103
	v_pk_add_f16 v92, v72, v4
	v_or_b32_e32 v4, 0x64006400, v105
	v_or_b32_e32 v6, 0x64006400, v6
	v_and_b32_e32 v7, 0xf000f0, v104
	v_pk_fma_f16 v93, v5, s9, v76 op_sel_hi:[1,0,1]
	v_or_b32_e32 v5, 0x64006400, v117
	v_pk_add_f16 v94, v73, v4
	v_pk_fma_f16 v4, v92, v38, 0
	v_or_b32_e32 v7, 0x64006400, v7
	v_pk_add_f16 v102, v72, v6
	v_and_b32_e32 v6, 0xf000f, v85
	v_pk_fma_f16 v95, v5, s9, v77 op_sel_hi:[1,0,1]
	v_pk_fma_f16 v4, v93, v39, v4
	v_pk_fma_f16 v5, v94, v38, 0
	v_pk_fma_f16 v103, v7, s9, v76 op_sel_hi:[1,0,1]
	v_or_b32_e32 v6, 0x64006400, v6
	v_and_b32_e32 v7, 0xf000f0, v85
	v_pk_fma_f16 v5, v95, v39, v5
	v_or_b32_e32 v7, 0x64006400, v7
	v_pk_add_f16 v85, v73, v6
	v_pk_fma_f16 v4, v102, v32, v4
	v_pk_fma_f16 v104, v7, s9, v77 op_sel_hi:[1,0,1]
	v_pk_fma_f16 v105, v103, v33, v4
	v_pk_fma_f16 v32, v85, v32, v5
	v_cvt_f32_f16_e32 v5, v84
	v_cvt_f32_f16_e32 v4, v83
	v_cvt_f32_f16_sdwa v7, v84 dst_sel:DWORD dst_unused:UNUSED_PAD src0_sel:WORD_1
	v_cvt_f32_f16_sdwa v6, v83 dst_sel:DWORD dst_unused:UNUSED_PAD src0_sel:WORD_1
	v_cvt_f32_f16_e32 v39, v90
	v_cvt_f32_f16_e32 v38, v89
	v_cvt_f32_f16_sdwa v59, v90 dst_sel:DWORD dst_unused:UNUSED_PAD src0_sel:WORD_1
	v_cvt_f32_f16_sdwa v58, v89 dst_sel:DWORD dst_unused:UNUSED_PAD src0_sel:WORD_1
	v_pk_add_f32 v[4:5], v[4:5], v[6:7]
	v_pk_fma_f16 v83, v104, v33, v32
	v_pk_fma_f32 v[4:5], v[4:5], v[26:27], v[28:29]
	v_cvt_f32_f16_e32 v29, v109
	v_cvt_f32_f16_e32 v28, v108
	v_cvt_f32_f16_sdwa v33, v109 dst_sel:DWORD dst_unused:UNUSED_PAD src0_sel:WORD_1
	v_cvt_f32_f16_sdwa v32, v108 dst_sel:DWORD dst_unused:UNUSED_PAD src0_sel:WORD_1
	v_pk_add_f32 v[6:7], v[38:39], v[58:59]
	v_cvt_f32_f16_e32 v39, v83
	v_cvt_f32_f16_e32 v38, v105
	v_cvt_f32_f16_sdwa v59, v83 dst_sel:DWORD dst_unused:UNUSED_PAD src0_sel:WORD_1
	v_cvt_f32_f16_sdwa v58, v105 dst_sel:DWORD dst_unused:UNUSED_PAD src0_sel:WORD_1
	v_pk_fma_f32 v[4:5], v[6:7], v[26:27], v[4:5]
	v_pk_add_f32 v[6:7], v[28:29], v[32:33]
	v_pk_fma_f32 v[4:5], v[6:7], v[26:27], v[4:5]
	v_pk_add_f32 v[6:7], v[38:39], v[58:59]
	v_cvt_f32_f16_e32 v33, v82
	v_cvt_f32_f16_e32 v32, v81
	v_cvt_f32_f16_sdwa v39, v82 dst_sel:DWORD dst_unused:UNUSED_PAD src0_sel:WORD_1
	v_cvt_f32_f16_sdwa v38, v81 dst_sel:DWORD dst_unused:UNUSED_PAD src0_sel:WORD_1
	v_cvt_f32_f16_e32 v59, v88
	v_cvt_f32_f16_e32 v58, v87
	v_cvt_f32_f16_sdwa v83, v88 dst_sel:DWORD dst_unused:UNUSED_PAD src0_sel:WORD_1
	v_cvt_f32_f16_sdwa v82, v87 dst_sel:DWORD dst_unused:UNUSED_PAD src0_sel:WORD_1
	v_pk_fma_f32 v[28:29], v[6:7], v[26:27], v[4:5]
	v_pk_add_f32 v[4:5], v[32:33], v[38:39]
	v_pk_fma_f16 v38, v78, v42, 0
	v_pk_fma_f16 v38, v86, v43, v38
	;; [unrolled: 1-line block ×3, first 2 shown]
	v_pk_add_f32 v[6:7], v[58:59], v[82:83]
	v_pk_fma_f16 v58, v97, v41, v38
	v_pk_fma_f16 v38, v98, v42, 0
	;; [unrolled: 1-line block ×4, first 2 shown]
	v_pk_fma_f32 v[4:5], v[4:5], v[24:25], v[22:23]
	v_cvt_f32_f16_e32 v23, v111
	v_cvt_f32_f16_e32 v22, v110
	v_cvt_f32_f16_sdwa v33, v111 dst_sel:DWORD dst_unused:UNUSED_PAD src0_sel:WORD_1
	v_cvt_f32_f16_sdwa v32, v110 dst_sel:DWORD dst_unused:UNUSED_PAD src0_sel:WORD_1
	v_pk_fma_f16 v59, v101, v41, v38
	v_cvt_f32_f16_e32 v39, v59
	v_cvt_f32_f16_e32 v38, v58
	v_cvt_f32_f16_sdwa v59, v59 dst_sel:DWORD dst_unused:UNUSED_PAD src0_sel:WORD_1
	v_cvt_f32_f16_sdwa v58, v58 dst_sel:DWORD dst_unused:UNUSED_PAD src0_sel:WORD_1
	v_pk_fma_f32 v[4:5], v[6:7], v[24:25], v[4:5]
	v_pk_add_f32 v[6:7], v[22:23], v[32:33]
	v_pk_fma_f32 v[4:5], v[6:7], v[24:25], v[4:5]
	v_pk_add_f32 v[6:7], v[38:39], v[58:59]
	v_pk_fma_f32 v[22:23], v[6:7], v[24:25], v[4:5]
	v_pk_fma_f16 v4, v92, v42, 0
	v_pk_fma_f16 v4, v93, v43, v4
	;; [unrolled: 1-line block ×7, first 2 shown]
	v_cvt_f32_f16_e32 v5, v80
	v_cvt_f32_f16_e32 v4, v79
	v_cvt_f32_f16_sdwa v7, v80 dst_sel:DWORD dst_unused:UNUSED_PAD src0_sel:WORD_1
	v_cvt_f32_f16_sdwa v6, v79 dst_sel:DWORD dst_unused:UNUSED_PAD src0_sel:WORD_1
	v_cvt_f32_f16_e32 v33, v65
	v_cvt_f32_f16_e32 v32, v64
	v_cvt_f32_f16_sdwa v39, v65 dst_sel:DWORD dst_unused:UNUSED_PAD src0_sel:WORD_1
	v_cvt_f32_f16_sdwa v38, v64 dst_sel:DWORD dst_unused:UNUSED_PAD src0_sel:WORD_1
	v_pk_add_f32 v[4:5], v[4:5], v[6:7]
	v_pk_fma_f16 v40, v104, v41, v40
	v_pk_fma_f32 v[4:5], v[4:5], v[26:27], v[18:19]
	v_pk_add_f32 v[6:7], v[32:33], v[38:39]
	v_cvt_f32_f16_e32 v19, v113
	v_cvt_f32_f16_e32 v18, v112
	v_cvt_f32_f16_sdwa v33, v113 dst_sel:DWORD dst_unused:UNUSED_PAD src0_sel:WORD_1
	v_cvt_f32_f16_sdwa v32, v112 dst_sel:DWORD dst_unused:UNUSED_PAD src0_sel:WORD_1
	v_cvt_f32_f16_e32 v39, v40
	v_cvt_f32_f16_e32 v38, v42
	v_cvt_f32_f16_sdwa v41, v40 dst_sel:DWORD dst_unused:UNUSED_PAD src0_sel:WORD_1
	v_cvt_f32_f16_sdwa v40, v42 dst_sel:DWORD dst_unused:UNUSED_PAD src0_sel:WORD_1
	v_pk_fma_f32 v[4:5], v[6:7], v[26:27], v[4:5]
	v_pk_add_f32 v[6:7], v[18:19], v[32:33]
	v_pk_fma_f32 v[4:5], v[6:7], v[26:27], v[4:5]
	v_pk_add_f32 v[6:7], v[38:39], v[40:41]
	v_cvt_f32_f16_e32 v33, v67
	v_cvt_f32_f16_e32 v32, v66
	v_cvt_f32_f16_sdwa v39, v67 dst_sel:DWORD dst_unused:UNUSED_PAD src0_sel:WORD_1
	v_cvt_f32_f16_sdwa v38, v66 dst_sel:DWORD dst_unused:UNUSED_PAD src0_sel:WORD_1
	v_cvt_f32_f16_e32 v41, v63
	v_cvt_f32_f16_e32 v40, v62
	v_cvt_f32_f16_sdwa v43, v63 dst_sel:DWORD dst_unused:UNUSED_PAD src0_sel:WORD_1
	v_cvt_f32_f16_sdwa v42, v62 dst_sel:DWORD dst_unused:UNUSED_PAD src0_sel:WORD_1
	v_pk_fma_f32 v[18:19], v[6:7], v[26:27], v[4:5]
	v_pk_add_f32 v[4:5], v[32:33], v[38:39]
	v_pk_fma_f16 v38, v78, v36, 0
	v_pk_fma_f16 v38, v86, v37, v38
	v_pk_fma_f16 v38, v91, v34, v38
	v_pk_add_f32 v[6:7], v[40:41], v[42:43]
	v_pk_fma_f16 v40, v97, v35, v38
	v_pk_fma_f16 v38, v98, v36, 0
	;; [unrolled: 1-line block ×4, first 2 shown]
	v_pk_fma_f32 v[4:5], v[4:5], v[24:25], v[16:17]
	v_cvt_f32_f16_e32 v17, v115
	v_cvt_f32_f16_e32 v16, v114
	v_cvt_f32_f16_sdwa v33, v115 dst_sel:DWORD dst_unused:UNUSED_PAD src0_sel:WORD_1
	v_cvt_f32_f16_sdwa v32, v114 dst_sel:DWORD dst_unused:UNUSED_PAD src0_sel:WORD_1
	v_pk_fma_f16 v41, v101, v35, v38
	v_cvt_f32_f16_e32 v39, v41
	v_cvt_f32_f16_e32 v38, v40
	v_cvt_f32_f16_sdwa v41, v41 dst_sel:DWORD dst_unused:UNUSED_PAD src0_sel:WORD_1
	v_cvt_f32_f16_sdwa v40, v40 dst_sel:DWORD dst_unused:UNUSED_PAD src0_sel:WORD_1
	v_pk_fma_f32 v[4:5], v[6:7], v[24:25], v[4:5]
	v_pk_add_f32 v[6:7], v[16:17], v[32:33]
	v_pk_fma_f32 v[4:5], v[6:7], v[24:25], v[4:5]
	v_pk_add_f32 v[6:7], v[38:39], v[40:41]
	v_pk_fma_f32 v[16:17], v[6:7], v[24:25], v[4:5]
	v_pk_fma_f16 v4, v92, v36, 0
	v_pk_fma_f16 v4, v93, v37, v4
	;; [unrolled: 1-line block ×7, first 2 shown]
	v_cvt_f32_f16_e32 v5, v53
	v_cvt_f32_f16_e32 v4, v52
	v_cvt_f32_f16_sdwa v7, v53 dst_sel:DWORD dst_unused:UNUSED_PAD src0_sel:WORD_1
	v_cvt_f32_f16_sdwa v6, v52 dst_sel:DWORD dst_unused:UNUSED_PAD src0_sel:WORD_1
	v_cvt_f32_f16_e32 v33, v61
	v_cvt_f32_f16_e32 v32, v60
	v_cvt_f32_f16_sdwa v37, v61 dst_sel:DWORD dst_unused:UNUSED_PAD src0_sel:WORD_1
	v_cvt_f32_f16_sdwa v36, v60 dst_sel:DWORD dst_unused:UNUSED_PAD src0_sel:WORD_1
	v_pk_add_f32 v[4:5], v[4:5], v[6:7]
	v_pk_fma_f16 v39, v104, v35, v34
	v_pk_fma_f32 v[4:5], v[4:5], v[26:27], v[12:13]
	v_pk_add_f32 v[6:7], v[32:33], v[36:37]
	v_cvt_f32_f16_e32 v13, v96
	v_cvt_f32_f16_e32 v12, v116
	v_cvt_f32_f16_sdwa v33, v96 dst_sel:DWORD dst_unused:UNUSED_PAD src0_sel:WORD_1
	v_cvt_f32_f16_sdwa v32, v116 dst_sel:DWORD dst_unused:UNUSED_PAD src0_sel:WORD_1
	v_cvt_f32_f16_e32 v35, v39
	v_cvt_f32_f16_e32 v34, v38
	v_cvt_f32_f16_sdwa v37, v39 dst_sel:DWORD dst_unused:UNUSED_PAD src0_sel:WORD_1
	v_cvt_f32_f16_sdwa v36, v38 dst_sel:DWORD dst_unused:UNUSED_PAD src0_sel:WORD_1
	v_pk_fma_f32 v[4:5], v[6:7], v[26:27], v[4:5]
	v_pk_add_f32 v[6:7], v[12:13], v[32:33]
	v_pk_fma_f32 v[4:5], v[6:7], v[26:27], v[4:5]
	v_pk_add_f32 v[6:7], v[34:35], v[36:37]
	v_pk_fma_f32 v[12:13], v[6:7], v[26:27], v[4:5]
	s_waitcnt lgkmcnt(1)
	v_pk_fma_f16 v4, v78, v2, 0
	v_pk_fma_f16 v4, v86, v3, v4
	s_waitcnt lgkmcnt(0)
	v_pk_fma_f16 v4, v91, v0, v4
	v_pk_fma_f16 v36, v97, v1, v4
	;; [unrolled: 1-line block ×5, first 2 shown]
	v_cvt_f32_f16_e32 v5, v51
	v_cvt_f32_f16_e32 v4, v50
	v_cvt_f32_f16_sdwa v7, v51 dst_sel:DWORD dst_unused:UNUSED_PAD src0_sel:WORD_1
	v_cvt_f32_f16_sdwa v6, v50 dst_sel:DWORD dst_unused:UNUSED_PAD src0_sel:WORD_1
	v_cvt_f32_f16_e32 v33, v57
	v_cvt_f32_f16_e32 v32, v56
	v_cvt_f32_f16_sdwa v35, v57 dst_sel:DWORD dst_unused:UNUSED_PAD src0_sel:WORD_1
	v_cvt_f32_f16_sdwa v34, v56 dst_sel:DWORD dst_unused:UNUSED_PAD src0_sel:WORD_1
	v_pk_add_f32 v[4:5], v[4:5], v[6:7]
	v_pk_fma_f16 v37, v101, v1, v37
	v_pk_fma_f32 v[4:5], v[4:5], v[24:25], v[14:15]
	v_pk_add_f32 v[6:7], v[32:33], v[34:35]
	v_cvt_f32_f16_e32 v15, v47
	v_cvt_f32_f16_e32 v14, v46
	v_cvt_f32_f16_sdwa v33, v47 dst_sel:DWORD dst_unused:UNUSED_PAD src0_sel:WORD_1
	v_cvt_f32_f16_sdwa v32, v46 dst_sel:DWORD dst_unused:UNUSED_PAD src0_sel:WORD_1
	v_cvt_f32_f16_e32 v35, v37
	v_cvt_f32_f16_e32 v34, v36
	v_cvt_f32_f16_sdwa v37, v37 dst_sel:DWORD dst_unused:UNUSED_PAD src0_sel:WORD_1
	v_cvt_f32_f16_sdwa v36, v36 dst_sel:DWORD dst_unused:UNUSED_PAD src0_sel:WORD_1
	v_pk_fma_f32 v[4:5], v[6:7], v[24:25], v[4:5]
	v_pk_add_f32 v[6:7], v[14:15], v[32:33]
	v_pk_fma_f32 v[4:5], v[6:7], v[24:25], v[4:5]
	v_pk_add_f32 v[6:7], v[34:35], v[36:37]
	v_pk_fma_f32 v[14:15], v[6:7], v[24:25], v[4:5]
	v_pk_fma_f16 v4, v92, v2, 0
	v_pk_fma_f16 v4, v93, v3, v4
	;; [unrolled: 1-line block ×7, first 2 shown]
	v_cvt_f32_f16_e32 v3, v49
	v_cvt_f32_f16_e32 v2, v48
	v_cvt_f32_f16_sdwa v5, v49 dst_sel:DWORD dst_unused:UNUSED_PAD src0_sel:WORD_1
	v_cvt_f32_f16_sdwa v4, v48 dst_sel:DWORD dst_unused:UNUSED_PAD src0_sel:WORD_1
	v_cvt_f32_f16_e32 v7, v55
	v_cvt_f32_f16_e32 v6, v54
	v_cvt_f32_f16_sdwa v33, v55 dst_sel:DWORD dst_unused:UNUSED_PAD src0_sel:WORD_1
	v_cvt_f32_f16_sdwa v32, v54 dst_sel:DWORD dst_unused:UNUSED_PAD src0_sel:WORD_1
	v_pk_fma_f16 v35, v104, v1, v0
	v_pk_add_f32 v[0:1], v[2:3], v[4:5]
	v_cvt_f32_f16_e32 v5, v45
	v_pk_add_f32 v[2:3], v[6:7], v[32:33]
	v_cvt_f32_f16_e32 v4, v44
	v_cvt_f32_f16_sdwa v7, v45 dst_sel:DWORD dst_unused:UNUSED_PAD src0_sel:WORD_1
	v_cvt_f32_f16_sdwa v6, v44 dst_sel:DWORD dst_unused:UNUSED_PAD src0_sel:WORD_1
	v_pk_fma_f32 v[0:1], v[0:1], v[26:27], v[10:11]
	v_cvt_f32_f16_e32 v11, v35
	v_cvt_f32_f16_e32 v10, v34
	v_cvt_f32_f16_sdwa v33, v35 dst_sel:DWORD dst_unused:UNUSED_PAD src0_sel:WORD_1
	v_cvt_f32_f16_sdwa v32, v34 dst_sel:DWORD dst_unused:UNUSED_PAD src0_sel:WORD_1
	v_pk_fma_f32 v[0:1], v[2:3], v[26:27], v[0:1]
	v_pk_add_f32 v[2:3], v[4:5], v[6:7]
	v_pk_fma_f32 v[0:1], v[2:3], v[26:27], v[0:1]
	v_pk_add_f32 v[2:3], v[10:11], v[32:33]
	v_pk_fma_f32 v[10:11], v[2:3], v[26:27], v[0:1]
	v_mov_b32_e32 v0, s1
	v_addc_co_u32_e32 v21, vcc, v21, v0, vcc
	s_cbranch_scc1 .LBB29_16
.LBB29_14:                              ; =>This Inner Loop Header: Depth=1
	s_cmp_lg_u32 s24, s10
	s_cbranch_scc1 .LBB29_13
; %bb.15:                               ;   in Loop: Header=BB29_14 Depth=1
	s_add_i32 s6, s6, 1
	s_mul_i32 s11, s6, s20
	s_ashr_i32 s12, s11, 31
	s_lshr_b32 s12, s12, 29
	s_add_i32 s12, s11, s12
	v_add_u32_e32 v2, s11, v8
	s_ashr_i32 s12, s12, 3
	v_ashrrev_i32_e32 v3, 31, v2
	v_add_u32_e32 v0, s12, v68
	v_lshlrev_b64 v[2:3], 1, v[2:3]
	v_ashrrev_i32_e32 v1, 31, v0
	v_mov_b32_e32 v5, s17
	v_add_co_u32_e32 v2, vcc, s16, v2
	v_lshlrev_b64 v[0:1], 2, v[0:1]
	v_addc_co_u32_e32 v3, vcc, v5, v3, vcc
	v_mov_b32_e32 v4, s15
	v_add_co_u32_e32 v0, vcc, s14, v0
	v_addc_co_u32_e32 v1, vcc, v4, v1, vcc
	global_load_dword v0, v[0:1], off
	s_add_i32 s10, s10, s5
	global_load_dwordx2 v[2:3], v[2:3], off
	s_waitcnt vmcnt(1)
	v_lshrrev_b32_e32 v1, v69, v0
	v_bfe_u32 v0, v0, v69, 4
	s_waitcnt vmcnt(0)
	v_cvt_f32_f16_e32 v24, v2
	v_cvt_f32_f16_sdwa v25, v2 dst_sel:DWORD dst_unused:UNUSED_PAD src0_sel:WORD_1
	v_cvt_f32_f16_e32 v26, v3
	v_cvt_f32_f16_sdwa v27, v3 dst_sel:DWORD dst_unused:UNUSED_PAD src0_sel:WORD_1
	v_bfe_u32 v2, v1, 4, 4
	v_bfe_u32 v3, v1, 8, 4
	v_bfe_u32 v1, v1, 12, 4
	v_add_u32_e32 v0, v0, v9
	v_or_b32_e32 v4, 0xffffe400, v0
	v_cvt_f32_ubyte0_e32 v0, v0
	v_add_u32_e32 v2, v2, v9
	v_add_u32_e32 v3, v3, v9
	;; [unrolled: 1-line block ×3, first 2 shown]
	v_cvt_f16_f32_e32 v0, v0
	v_perm_b32 v70, v4, v4, s8
	v_or_b32_e32 v4, 0xffffe400, v2
	v_cvt_f32_ubyte0_e32 v2, v2
	v_or_b32_e32 v5, 0xffffe400, v3
	v_cvt_f32_ubyte0_e32 v3, v3
	;; [unrolled: 2-line block ×3, first 2 shown]
	v_cvt_f16_f32_e32 v2, v2
	v_cvt_f16_f32_e32 v3, v3
	v_cvt_f16_f32_e32 v1, v1
	v_sub_f16_e32 v0, 0xd400, v0
	v_pack_b32_f16 v74, v0, v0
	v_sub_f16_e32 v0, 0xd400, v2
	v_sub_f16_e32 v2, 0xd400, v3
	;; [unrolled: 1-line block ×3, first 2 shown]
	v_perm_b32 v71, v4, v4, s8
	v_perm_b32 v72, v5, v5, s8
	;; [unrolled: 1-line block ×3, first 2 shown]
	v_pack_b32_f16 v75, v0, v0
	v_pack_b32_f16 v76, v2, v2
	;; [unrolled: 1-line block ×3, first 2 shown]
	s_branch .LBB29_13
.LBB29_16:
	v_cvt_f16_f32_e32 v0, v31
	v_cvt_f16_f32_e32 v1, v30
	;; [unrolled: 1-line block ×8, first 2 shown]
	v_pack_b32_f16 v21, v1, v0
	v_pack_b32_f16 v20, v3, v2
	;; [unrolled: 1-line block ×4, first 2 shown]
	v_cvt_f16_f32_e32 v0, v17
	v_cvt_f16_f32_e32 v1, v16
	;; [unrolled: 1-line block ×8, first 2 shown]
	v_pack_b32_f16 v10, v1, v0
	v_pack_b32_f16 v9, v3, v2
	;; [unrolled: 1-line block ×4, first 2 shown]
.LBB29_17:
	s_mul_i32 s7, s7, s20
	v_add_u32_e32 v0, s7, v8
	v_ashrrev_i32_e32 v1, 31, v0
	v_lshlrev_b64 v[2:3], 1, v[0:1]
	v_mov_b32_e32 v1, s19
	v_add_co_u32_e32 v2, vcc, s18, v2
	v_addc_co_u32_e32 v3, vcc, v1, v3, vcc
	global_load_dword v5, v[2:3], off
	s_mov_b64 s[0:1], 0
.LBB29_18:                              ; =>This Inner Loop Header: Depth=1
	s_waitcnt vmcnt(0)
	v_pk_add_f16 v4, v21, v5
	global_atomic_cmpswap v1, v[2:3], v[4:5], off glc
	s_waitcnt vmcnt(0)
	v_cmp_eq_u32_e32 vcc, v5, v1
	s_or_b64 s[0:1], vcc, s[0:1]
	v_mov_b32_e32 v5, v1
	s_andn2_b64 exec, exec, s[0:1]
	s_cbranch_execnz .LBB29_18
; %bb.19:
	s_or_b64 exec, exec, s[0:1]
	global_load_dword v5, v[2:3], off offset:4
	s_mov_b64 s[0:1], 0
.LBB29_20:                              ; =>This Inner Loop Header: Depth=1
	s_waitcnt vmcnt(0)
	v_pk_add_f16 v4, v20, v5
	global_atomic_cmpswap v1, v[2:3], v[4:5], off offset:4 glc
	s_waitcnt vmcnt(0)
	v_cmp_eq_u32_e32 vcc, v5, v1
	s_or_b64 s[0:1], vcc, s[0:1]
	v_mov_b32_e32 v5, v1
	s_andn2_b64 exec, exec, s[0:1]
	s_cbranch_execnz .LBB29_20
; %bb.21:
	s_or_b64 exec, exec, s[0:1]
	v_add_u32_e32 v0, s20, v0
	v_ashrrev_i32_e32 v1, 31, v0
	v_lshlrev_b64 v[2:3], 1, v[0:1]
	v_mov_b32_e32 v1, s19
	v_add_co_u32_e32 v2, vcc, s18, v2
	v_addc_co_u32_e32 v3, vcc, v1, v3, vcc
	global_load_dword v5, v[2:3], off
	s_mov_b64 s[0:1], 0
.LBB29_22:                              ; =>This Inner Loop Header: Depth=1
	s_waitcnt vmcnt(0)
	v_pk_add_f16 v4, v19, v5
	global_atomic_cmpswap v1, v[2:3], v[4:5], off glc
	s_waitcnt vmcnt(0)
	v_cmp_eq_u32_e32 vcc, v5, v1
	s_or_b64 s[0:1], vcc, s[0:1]
	v_mov_b32_e32 v5, v1
	s_andn2_b64 exec, exec, s[0:1]
	s_cbranch_execnz .LBB29_22
; %bb.23:
	s_or_b64 exec, exec, s[0:1]
	global_load_dword v5, v[2:3], off offset:4
	s_mov_b64 s[0:1], 0
.LBB29_24:                              ; =>This Inner Loop Header: Depth=1
	s_waitcnt vmcnt(0)
	v_pk_add_f16 v4, v18, v5
	global_atomic_cmpswap v1, v[2:3], v[4:5], off offset:4 glc
	s_waitcnt vmcnt(0)
	v_cmp_eq_u32_e32 vcc, v5, v1
	s_or_b64 s[0:1], vcc, s[0:1]
	v_mov_b32_e32 v5, v1
	s_andn2_b64 exec, exec, s[0:1]
	s_cbranch_execnz .LBB29_24
; %bb.25:
	s_or_b64 exec, exec, s[0:1]
	;; [unrolled: 34-line block ×3, first 2 shown]
	v_add_u32_e32 v0, s20, v0
	v_ashrrev_i32_e32 v1, 31, v0
	v_lshlrev_b64 v[0:1], 1, v[0:1]
	v_mov_b32_e32 v2, s19
	v_add_co_u32_e32 v0, vcc, s18, v0
	v_addc_co_u32_e32 v1, vcc, v2, v1, vcc
	global_load_dword v3, v[0:1], off
	s_mov_b64 s[0:1], 0
.LBB29_30:                              ; =>This Inner Loop Header: Depth=1
	s_waitcnt vmcnt(0)
	v_pk_add_f16 v2, v7, v3
	global_atomic_cmpswap v2, v[0:1], v[2:3], off glc
	s_waitcnt vmcnt(0)
	v_cmp_eq_u32_e32 vcc, v3, v2
	s_or_b64 s[0:1], vcc, s[0:1]
	v_mov_b32_e32 v3, v2
	s_andn2_b64 exec, exec, s[0:1]
	s_cbranch_execnz .LBB29_30
; %bb.31:
	s_or_b64 exec, exec, s[0:1]
	global_load_dword v3, v[0:1], off offset:4
	s_mov_b64 s[0:1], 0
.LBB29_32:                              ; =>This Inner Loop Header: Depth=1
	s_waitcnt vmcnt(0)
	v_pk_add_f16 v2, v6, v3
	global_atomic_cmpswap v2, v[0:1], v[2:3], off offset:4 glc
	s_waitcnt vmcnt(0)
	v_cmp_eq_u32_e32 vcc, v3, v2
	s_or_b64 s[0:1], vcc, s[0:1]
	v_mov_b32_e32 v3, v2
	s_andn2_b64 exec, exec, s[0:1]
	s_cbranch_execnz .LBB29_32
.LBB29_33:
	s_endpgm
	.section	.rodata,"a",@progbits
	.p2align	6, 0x0
	.amdhsa_kernel _ZN4vllm4gptq33gemm_half_q_half_gptq_4bit_kernelILb1ELi4EEEvPK6__halfPKjS6_S4_PS2_iiiibPKi
		.amdhsa_group_segment_fixed_size 1024
		.amdhsa_private_segment_fixed_size 0
		.amdhsa_kernarg_size 72
		.amdhsa_user_sgpr_count 6
		.amdhsa_user_sgpr_private_segment_buffer 1
		.amdhsa_user_sgpr_dispatch_ptr 0
		.amdhsa_user_sgpr_queue_ptr 0
		.amdhsa_user_sgpr_kernarg_segment_ptr 1
		.amdhsa_user_sgpr_dispatch_id 0
		.amdhsa_user_sgpr_flat_scratch_init 0
		.amdhsa_user_sgpr_kernarg_preload_length 0
		.amdhsa_user_sgpr_kernarg_preload_offset 0
		.amdhsa_user_sgpr_private_segment_size 0
		.amdhsa_uses_dynamic_stack 0
		.amdhsa_system_sgpr_private_segment_wavefront_offset 0
		.amdhsa_system_sgpr_workgroup_id_x 1
		.amdhsa_system_sgpr_workgroup_id_y 1
		.amdhsa_system_sgpr_workgroup_id_z 1
		.amdhsa_system_sgpr_workgroup_info 0
		.amdhsa_system_vgpr_workitem_id 0
		.amdhsa_next_free_vgpr 121
		.amdhsa_next_free_sgpr 26
		.amdhsa_accum_offset 124
		.amdhsa_reserve_vcc 1
		.amdhsa_reserve_flat_scratch 0
		.amdhsa_float_round_mode_32 0
		.amdhsa_float_round_mode_16_64 0
		.amdhsa_float_denorm_mode_32 3
		.amdhsa_float_denorm_mode_16_64 3
		.amdhsa_dx10_clamp 1
		.amdhsa_ieee_mode 1
		.amdhsa_fp16_overflow 0
		.amdhsa_tg_split 0
		.amdhsa_exception_fp_ieee_invalid_op 0
		.amdhsa_exception_fp_denorm_src 0
		.amdhsa_exception_fp_ieee_div_zero 0
		.amdhsa_exception_fp_ieee_overflow 0
		.amdhsa_exception_fp_ieee_underflow 0
		.amdhsa_exception_fp_ieee_inexact 0
		.amdhsa_exception_int_div_zero 0
	.end_amdhsa_kernel
	.section	.text._ZN4vllm4gptq33gemm_half_q_half_gptq_4bit_kernelILb1ELi4EEEvPK6__halfPKjS6_S4_PS2_iiiibPKi,"axG",@progbits,_ZN4vllm4gptq33gemm_half_q_half_gptq_4bit_kernelILb1ELi4EEEvPK6__halfPKjS6_S4_PS2_iiiibPKi,comdat
.Lfunc_end29:
	.size	_ZN4vllm4gptq33gemm_half_q_half_gptq_4bit_kernelILb1ELi4EEEvPK6__halfPKjS6_S4_PS2_iiiibPKi, .Lfunc_end29-_ZN4vllm4gptq33gemm_half_q_half_gptq_4bit_kernelILb1ELi4EEEvPK6__halfPKjS6_S4_PS2_iiiibPKi
                                        ; -- End function
	.section	.AMDGPU.csdata,"",@progbits
; Kernel info:
; codeLenInByte = 7728
; NumSgprs: 30
; NumVgprs: 121
; NumAgprs: 0
; TotalNumVgprs: 121
; ScratchSize: 0
; MemoryBound: 0
; FloatMode: 240
; IeeeMode: 1
; LDSByteSize: 1024 bytes/workgroup (compile time only)
; SGPRBlocks: 3
; VGPRBlocks: 15
; NumSGPRsForWavesPerEU: 30
; NumVGPRsForWavesPerEU: 121
; AccumOffset: 124
; Occupancy: 4
; WaveLimiterHint : 0
; COMPUTE_PGM_RSRC2:SCRATCH_EN: 0
; COMPUTE_PGM_RSRC2:USER_SGPR: 6
; COMPUTE_PGM_RSRC2:TRAP_HANDLER: 0
; COMPUTE_PGM_RSRC2:TGID_X_EN: 1
; COMPUTE_PGM_RSRC2:TGID_Y_EN: 1
; COMPUTE_PGM_RSRC2:TGID_Z_EN: 1
; COMPUTE_PGM_RSRC2:TIDIG_COMP_CNT: 0
; COMPUTE_PGM_RSRC3_GFX90A:ACCUM_OFFSET: 30
; COMPUTE_PGM_RSRC3_GFX90A:TG_SPLIT: 0
	.section	.text._ZN4vllm4gptq33gemm_half_q_half_gptq_8bit_kernelILb1ELi4EEEvPK6__halfPKjS6_S4_PS2_iiiibPKi,"axG",@progbits,_ZN4vllm4gptq33gemm_half_q_half_gptq_8bit_kernelILb1ELi4EEEvPK6__halfPKjS6_S4_PS2_iiiibPKi,comdat
	.protected	_ZN4vllm4gptq33gemm_half_q_half_gptq_8bit_kernelILb1ELi4EEEvPK6__halfPKjS6_S4_PS2_iiiibPKi ; -- Begin function _ZN4vllm4gptq33gemm_half_q_half_gptq_8bit_kernelILb1ELi4EEEvPK6__halfPKjS6_S4_PS2_iiiibPKi
	.globl	_ZN4vllm4gptq33gemm_half_q_half_gptq_8bit_kernelILb1ELi4EEEvPK6__halfPKjS6_S4_PS2_iiiibPKi
	.p2align	8
	.type	_ZN4vllm4gptq33gemm_half_q_half_gptq_8bit_kernelILb1ELi4EEEvPK6__halfPKjS6_S4_PS2_iiiibPKi,@function
_ZN4vllm4gptq33gemm_half_q_half_gptq_8bit_kernelILb1ELi4EEEvPK6__halfPKjS6_S4_PS2_iiiibPKi: ; @_ZN4vllm4gptq33gemm_half_q_half_gptq_8bit_kernelILb1ELi4EEEvPK6__halfPKjS6_S4_PS2_iiiibPKi
; %bb.0:
	s_mov_b64 s[30:31], s[2:3]
	s_load_dwordx8 s[12:19], s[4:5], 0x8
	s_load_dwordx4 s[20:23], s[4:5], 0x2c
	s_mov_b64 s[28:29], s[0:1]
	s_add_u32 s28, s28, s9
	s_addc_u32 s29, s29, 0
	s_lshl_b32 s24, s8, 7
	s_add_i32 s0, s24, 0x80
	v_cvt_f64_u32_e32 v[2:3], s0
	s_waitcnt lgkmcnt(0)
	v_cvt_f64_i32_e32 v[4:5], s21
	v_min_f64 v[2:3], v[2:3], v[4:5]
	v_cvt_i32_f64_e32 v1, v[2:3]
	v_add_u32_e32 v2, s24, v0
	s_lshl_b32 s7, s7, 2
	v_readfirstlane_b32 s25, v1
	v_cmp_lt_u32_e32 vcc, v2, v1
	s_and_saveexec_b64 s[2:3], vcc
	s_cbranch_execz .LBB30_10
; %bb.1:
	s_load_dwordx2 s[0:1], s[4:5], 0x40
	s_load_dwordx2 s[8:9], s[4:5], 0x0
	v_mov_b32_e32 v3, 0
	v_lshlrev_b64 v[4:5], 2, v[2:3]
	v_pk_mov_b32 v[6:7], v[2:3], v[2:3] op_sel:[0,1]
	s_waitcnt lgkmcnt(0)
	s_cmp_lg_u64 s[0:1], 0
	v_mov_b32_e32 v1, s1
	v_add_co_u32_e32 v4, vcc, s0, v4
	s_cselect_b64 s[4:5], -1, 0
	s_cmp_eq_u64 s[0:1], 0
	v_addc_co_u32_e32 v5, vcc, v1, v5, vcc
	s_cbranch_scc1 .LBB30_3
; %bb.2:
	global_load_dword v6, v[4:5], off
	s_waitcnt vmcnt(0)
	v_ashrrev_i32_e32 v7, 31, v6
.LBB30_3:
	s_mul_i32 s10, s7, s21
	s_ashr_i32 s11, s10, 31
	s_lshl_b64 s[0:1], s[10:11], 1
	s_add_u32 s0, s8, s0
	s_addc_u32 s1, s9, s1
	v_lshlrev_b64 v[6:7], 1, v[6:7]
	v_mov_b32_e32 v1, s1
	v_add_co_u32_e32 v6, vcc, s0, v6
	v_addc_co_u32_e32 v7, vcc, v1, v7, vcc
	global_load_ushort v6, v[6:7], off
	v_lshlrev_b32_e32 v1, 1, v0
	v_cndmask_b32_e64 v7, 0, 1, s[4:5]
	v_cmp_ne_u32_e64 s[0:1], 1, v7
	s_andn2_b64 vcc, exec, s[4:5]
	s_waitcnt vmcnt(0)
	ds_write_b16 v1, v6
	v_pk_mov_b32 v[6:7], v[2:3], v[2:3] op_sel:[0,1]
	s_cbranch_vccnz .LBB30_5
; %bb.4:
	global_load_dword v6, v[4:5], off
	s_waitcnt vmcnt(0)
	v_ashrrev_i32_e32 v7, 31, v6
.LBB30_5:
	s_add_i32 s4, s10, s21
	s_ashr_i32 s5, s4, 31
	s_lshl_b64 s[10:11], s[4:5], 1
	s_add_u32 s5, s8, s10
	s_addc_u32 s10, s9, s11
	v_lshlrev_b64 v[6:7], 1, v[6:7]
	v_mov_b32_e32 v8, s10
	v_add_co_u32_e32 v6, vcc, s5, v6
	v_addc_co_u32_e32 v7, vcc, v8, v7, vcc
	global_load_ushort v6, v[6:7], off
	s_and_b64 vcc, exec, s[0:1]
	s_waitcnt vmcnt(0)
	ds_write_b16 v1, v6 offset:256
	v_pk_mov_b32 v[6:7], v[2:3], v[2:3] op_sel:[0,1]
	s_cbranch_vccnz .LBB30_7
; %bb.6:
	global_load_dword v6, v[4:5], off
	s_waitcnt vmcnt(0)
	v_ashrrev_i32_e32 v7, 31, v6
.LBB30_7:
	s_add_i32 s4, s4, s21
	s_ashr_i32 s5, s4, 31
	s_lshl_b64 s[10:11], s[4:5], 1
	s_add_u32 s5, s8, s10
	s_addc_u32 s10, s9, s11
	v_lshlrev_b64 v[6:7], 1, v[6:7]
	v_mov_b32_e32 v8, s10
	v_add_co_u32_e32 v6, vcc, s5, v6
	v_addc_co_u32_e32 v7, vcc, v8, v7, vcc
	global_load_ushort v6, v[6:7], off
	s_and_b64 vcc, exec, s[0:1]
	s_waitcnt vmcnt(0)
	ds_write_b16 v1, v6 offset:512
	s_cbranch_vccnz .LBB30_9
; %bb.8:
	global_load_dword v2, v[4:5], off
	s_waitcnt vmcnt(0)
	v_ashrrev_i32_e32 v3, 31, v2
.LBB30_9:
	s_add_i32 s0, s4, s21
	s_ashr_i32 s1, s0, 31
	s_lshl_b64 s[0:1], s[0:1], 1
	s_add_u32 s0, s8, s0
	s_addc_u32 s1, s9, s1
	v_lshlrev_b64 v[2:3], 1, v[2:3]
	v_mov_b32_e32 v4, s1
	v_add_co_u32_e32 v2, vcc, s0, v2
	v_addc_co_u32_e32 v3, vcc, v4, v3, vcc
	global_load_ushort v2, v[2:3], off
	s_waitcnt vmcnt(0)
	ds_write_b16 v1, v2 offset:768
.LBB30_10:
	s_or_b64 exec, exec, s[2:3]
	v_lshlrev_b32_e32 v0, 2, v0
	v_lshl_add_u32 v2, s6, 9, v0
	v_mov_b32_e32 v0, v2
	v_cmp_gt_i32_e32 vcc, s20, v2
	buffer_store_dword v0, off, s[28:31], 0 offset:56 ; 4-byte Folded Spill
	s_nop 0
	buffer_store_dword v1, off, s[28:31], 0 offset:60 ; 4-byte Folded Spill
	s_and_saveexec_b64 s[0:1], vcc
	s_cbranch_execz .LBB30_32
; %bb.11:
	s_abs_i32 s0, s22
	v_cvt_f32_u32_e32 v0, s0
	s_mov_b32 s4, 0
	v_mov_b32_e32 v116, 0
	v_mov_b32_e32 v105, 0
	v_rcp_iflag_f32_e32 v0, v0
	v_mov_b32_e32 v102, 0
	v_mov_b32_e32 v101, 0
	s_cmp_ge_i32 s24, s25
	v_mul_f32_e32 v0, 0x4f7ffffe, v0
	v_cvt_u32_f32_e32 v0, v0
	v_mov_b32_e32 v99, 0
	v_mov_b32_e32 v57, 0
	;; [unrolled: 1-line block ×3, first 2 shown]
	v_readfirstlane_b32 s1, v0
	v_mov_b32_e32 v97, 0
	s_waitcnt lgkmcnt(0)
	s_barrier
	s_cbranch_scc1 .LBB30_16
; %bb.12:
	buffer_load_dword v2, off, s[28:31], 0 offset:56 ; 4-byte Folded Reload
	buffer_load_dword v3, off, s[28:31], 0 offset:60 ; 4-byte Folded Reload
	s_sub_i32 s6, 0, s0
	s_mul_i32 s6, s6, s1
	s_mul_hi_u32 s6, s1, s6
	s_abs_i32 s5, s21
	s_add_i32 s1, s1, s6
	s_ashr_i32 s2, s21, 31
	s_ashr_i32 s3, s22, 31
	s_mul_hi_u32 s1, s5, s1
	s_xor_b32 s2, s2, s3
	s_mul_i32 s3, s1, s0
	s_sub_i32 s3, s5, s3
	s_add_i32 s5, s1, 1
	s_sub_i32 s6, s3, s0
	s_cmp_ge_u32 s3, s0
	s_cselect_b32 s1, s5, s1
	s_cselect_b32 s3, s6, s3
	s_add_i32 s5, s1, 1
	s_cmp_ge_u32 s3, s0
	s_cselect_b32 s0, s5, s1
	s_xor_b32 s0, s0, s2
	s_sub_i32 s5, s0, s2
	v_cvt_f32_u32_e32 v0, s5
	s_bitcmp1_b32 s23, 0
	s_cselect_b64 s[0:1], -1, 0
	s_sub_i32 s2, 0, s5
	v_rcp_iflag_f32_e32 v0, v0
	s_xor_b64 s[0:1], s[0:1], -1
	v_mov_b32_e32 v4, s17
	v_cndmask_b32_e64 v100, 0, 1, s[0:1]
	v_mul_f32_e32 v0, 0x4f7ffffe, v0
	v_cvt_u32_f32_e32 v0, v0
	v_mov_b32_e32 v97, 0
	v_mov_b32_e32 v98, 0
	;; [unrolled: 1-line block ×3, first 2 shown]
	v_readfirstlane_b32 s3, v0
	s_mul_i32 s2, s2, s3
	s_mul_hi_u32 s2, s3, s2
	s_add_i32 s3, s3, s2
	s_mul_hi_u32 s2, s24, s3
	s_mul_i32 s3, s2, s5
	s_sub_i32 s3, s24, s3
	s_add_i32 s6, s2, 1
	s_sub_i32 s8, s3, s5
	s_cmp_ge_u32 s3, s5
	s_cselect_b32 s2, s6, s2
	s_cselect_b32 s3, s8, s3
	s_add_i32 s6, s2, 1
	s_cmp_ge_u32 s3, s5
	s_cselect_b32 s6, s6, s2
	s_mul_i32 s9, s6, s20
	s_ashr_i32 s2, s9, 31
	s_lshr_b32 s2, s2, 30
	s_add_i32 s2, s9, s2
	s_ashr_i32 s2, s2, 2
	s_lshr_b32 s0, s24, 2
	s_mul_i32 s0, s0, s20
	s_ashr_i32 s1, s0, 31
	s_lshl_b64 s[22:23], s[0:1], 2
	s_ashr_i32 s21, s20, 31
	s_add_i32 s8, s5, s24
	s_lshl_b64 s[10:11], s[20:21], 2
	v_mov_b32_e32 v99, 0
	v_mov_b32_e32 v101, 0
	;; [unrolled: 1-line block ×5, first 2 shown]
	s_waitcnt vmcnt(1)
	v_mov_b32_e32 v6, v2
	v_ashrrev_i32_e32 v1, 2, v6
	v_add_u32_e32 v0, s2, v1
	buffer_store_dword v1, off, s[28:31], 0 offset:64 ; 4-byte Folded Spill
	v_ashrrev_i32_e32 v1, 31, v0
	v_lshlrev_b64 v[0:1], 2, v[0:1]
	v_mov_b32_e32 v2, s15
	v_add_co_u32_e32 v0, vcc, s14, v0
	v_addc_co_u32_e32 v1, vcc, v2, v1, vcc
	v_add_u32_e32 v2, s9, v6
	s_waitcnt vmcnt(1)
	v_ashrrev_i32_e32 v3, 31, v2
	v_lshlrev_b64 v[2:3], 1, v[2:3]
	v_add_co_u32_e32 v2, vcc, s16, v2
	v_ashrrev_i32_e32 v7, 31, v6
	v_addc_co_u32_e32 v3, vcc, v4, v3, vcc
	global_load_dword v8, v[0:1], off
	v_lshlrev_b64 v[0:1], 2, v[6:7]
	global_load_dwordx2 v[58:59], v[2:3], off
	v_add_co_u32_e32 v2, vcc, s0, v6
	buffer_store_dword v6, off, s[28:31], 0 offset:56 ; 4-byte Folded Spill
	s_nop 0
	buffer_store_dword v7, off, s[28:31], 0 offset:60 ; 4-byte Folded Spill
	v_mov_b32_e32 v3, s1
	v_mov_b32_e32 v4, s23
	s_lshl_b64 s[2:3], s[20:21], 5
	s_add_u32 s9, s10, s22
	s_addc_u32 s10, s11, s23
	v_addc_co_u32_e32 v3, vcc, v3, v7, vcc
	v_add_co_u32_e32 v6, vcc, s22, v0
	v_addc_co_u32_e32 v7, vcc, v4, v1, vcc
	v_lshlrev_b64 v[4:5], 2, v[2:3]
	v_add_co_u32_e32 v2, vcc, 8, v6
	buffer_store_dword v2, off, s[28:31], 0 ; 4-byte Folded Spill
	v_addc_co_u32_e32 v2, vcc, 0, v7, vcc
	buffer_store_dword v2, off, s[28:31], 0 offset:4 ; 4-byte Folded Spill
	v_mad_i64_i32 v[2:3], s[0:1], s20, 12, v[4:5]
	v_mad_i64_i32 v[6:7], s[0:1], s20, 20, v[4:5]
	v_add_co_u32_e32 v2, vcc, 8, v2
	s_lshl_b64 s[0:1], s[20:21], 3
	buffer_store_dword v2, off, s[28:31], 0 offset:8 ; 4-byte Folded Spill
	v_addc_co_u32_e32 v2, vcc, 0, v3, vcc
	buffer_store_dword v2, off, s[28:31], 0 offset:12 ; 4-byte Folded Spill
	v_mov_b32_e32 v2, s10
	s_add_u32 s10, s0, s22
	v_add_co_u32_e32 v3, vcc, s9, v0
	v_addc_co_u32_e32 v2, vcc, v2, v1, vcc
	s_addc_u32 s9, s1, s23
	buffer_store_dword v2, off, s[28:31], 0 offset:20 ; 4-byte Folded Spill
	v_mov_b32_e32 v2, s9
	v_add_co_u32_e32 v0, vcc, s10, v0
	s_lshl_b64 s[0:1], s[20:21], 4
	buffer_store_dword v0, off, s[28:31], 0 offset:24 ; 4-byte Folded Spill
	v_addc_co_u32_e32 v0, vcc, v2, v1, vcc
	buffer_store_dword v3, off, s[28:31], 0 offset:16 ; 4-byte Folded Spill
	v_mov_b32_e32 v3, s1
	buffer_store_dword v0, off, s[28:31], 0 offset:28 ; 4-byte Folded Spill
	v_add_co_u32_e32 v0, vcc, s0, v4
	v_addc_co_u32_e32 v1, vcc, v3, v5, vcc
	v_add_co_u32_e32 v0, vcc, 8, v0
	buffer_store_dword v0, off, s[28:31], 0 offset:32 ; 4-byte Folded Spill
	v_addc_co_u32_e32 v0, vcc, 0, v1, vcc
	v_add_co_u32_e32 v6, vcc, 8, v6
	buffer_store_dword v6, off, s[28:31], 0 offset:40 ; 4-byte Folded Spill
	v_addc_co_u32_e32 v6, vcc, 0, v7, vcc
	buffer_store_dword v6, off, s[28:31], 0 offset:44 ; 4-byte Folded Spill
	v_mad_i64_i32 v[6:7], s[0:1], s20, 24, v[4:5]
	v_add_co_u32_e32 v6, vcc, 8, v6
	v_addc_co_u32_e32 v117, vcc, 0, v7, vcc
	v_mad_i64_i32 v[4:5], s[0:1], s20, 28, v[4:5]
	v_add_co_u32_e32 v4, vcc, 8, v4
	buffer_store_dword v0, off, s[28:31], 0 offset:36 ; 4-byte Folded Spill
	s_waitcnt vmcnt(15)
	v_and_b32_e32 v0, 0xff, v8
	v_bfe_u32 v1, v8, 8, 8
	v_bfe_u32 v2, v8, 16, 8
	v_lshrrev_b32_e32 v3, 24, v8
	v_addc_co_u32_e32 v120, vcc, 0, v5, vcc
	buffer_store_dword v6, off, s[28:31], 0 offset:48 ; 4-byte Folded Spill
	buffer_store_dword v4, off, s[28:31], 0 offset:52 ; 4-byte Folded Spill
	s_branch .LBB30_14
.LBB30_13:                              ;   in Loop: Header=BB30_14 Depth=1
	buffer_load_dword v4, off, s[28:31], 0  ; 4-byte Folded Reload
	buffer_load_dword v5, off, s[28:31], 0 offset:4 ; 4-byte Folded Reload
	v_mov_b32_e32 v121, s13
	v_mov_b32_e32 v124, s4
	v_add_u32_e32 v122, v1, v100
	v_add_u32_e32 v123, v0, v100
	v_add_u32_e32 v125, v3, v100
	v_add_u32_e32 v126, v2, v100
	s_add_i32 s24, s24, 32
	s_waitcnt vmcnt(1)
	v_add_co_u32_e32 v4, vcc, s12, v4
	s_waitcnt vmcnt(0)
	v_addc_co_u32_e32 v5, vcc, v121, v5, vcc
	global_load_dwordx4 v[16:19], v[4:5], off offset:-8
	s_waitcnt vmcnt(0)
	v_sub_u32_sdwa v25, v16, v123 dst_sel:DWORD dst_unused:UNUSED_PAD src0_sel:BYTE_0 src1_sel:DWORD
	buffer_load_dword v4, off, s[28:31], 0 offset:16 ; 4-byte Folded Reload
	v_sub_u32_sdwa v27, v19, v125 dst_sel:DWORD dst_unused:UNUSED_PAD src0_sel:BYTE_0 src1_sel:DWORD
	v_sub_u32_sdwa v29, v18, v126 dst_sel:DWORD dst_unused:UNUSED_PAD src0_sel:BYTE_0 src1_sel:DWORD
	v_cvt_f32_i32_e32 v25, v25
	v_cvt_f32_i32_e32 v27, v27
	;; [unrolled: 1-line block ×3, first 2 shown]
	v_sub_u32_sdwa v31, v17, v122 dst_sel:DWORD dst_unused:UNUSED_PAD src0_sel:BYTE_1 src1_sel:DWORD
	v_cvt_f16_f32_e32 v25, v25
	v_cvt_f16_f32_e32 v27, v27
	v_cvt_f16_f32_e32 v29, v29
	v_sub_u32_sdwa v33, v16, v123 dst_sel:DWORD dst_unused:UNUSED_PAD src0_sel:BYTE_1 src1_sel:DWORD
	v_cvt_f32_f16_e32 v60, v25
	v_cvt_f32_f16_e32 v63, v27
	v_cvt_f32_f16_e32 v62, v29
	v_sub_u32_sdwa v35, v19, v125 dst_sel:DWORD dst_unused:UNUSED_PAD src0_sel:BYTE_1 src1_sel:DWORD
	v_cvt_f32_i32_e32 v31, v31
	v_cvt_f32_i32_e32 v33, v33
	v_cvt_f32_i32_e32 v35, v35
	v_cvt_f16_f32_e32 v31, v31
	v_cvt_f16_f32_e32 v33, v33
	v_cvt_f16_f32_e32 v35, v35
	v_cvt_f32_f16_e32 v65, v31
	v_cvt_f32_f16_e32 v64, v33
	;; [unrolled: 1-line block ×3, first 2 shown]
	s_waitcnt vmcnt(0)
	v_add_co_u32_e32 v20, vcc, s12, v4
	buffer_load_dword v4, off, s[28:31], 0 offset:24 ; 4-byte Folded Reload
	s_waitcnt vmcnt(0)
	v_add_co_u32_e64 v22, s[0:1], s12, v4
	buffer_load_dword v4, off, s[28:31], 0 offset:20 ; 4-byte Folded Reload
	s_waitcnt vmcnt(0)
	v_addc_co_u32_e32 v21, vcc, v121, v4, vcc
	ds_read_b128 v[36:39], v124
	ds_read_b128 v[4:7], v124 offset:16
	ds_read_b128 v[40:43], v124 offset:256
	;; [unrolled: 1-line block ×6, first 2 shown]
	buffer_load_dword v23, off, s[28:31], 0 offset:28 ; 4-byte Folded Reload
	global_load_dwordx4 v[52:55], v[20:21], off
	v_sub_u32_sdwa v21, v17, v122 dst_sel:DWORD dst_unused:UNUSED_PAD src0_sel:BYTE_0 src1_sel:DWORD
	v_cvt_f32_i32_e32 v21, v21
	s_waitcnt lgkmcnt(6)
	v_cvt_f32_f16_e32 v20, v36
	v_cvt_f32_f16_sdwa v30, v36 dst_sel:DWORD dst_unused:UNUSED_PAD src0_sel:WORD_1
	v_sub_u32_sdwa v36, v18, v126 dst_sel:DWORD dst_unused:UNUSED_PAD src0_sel:BYTE_1 src1_sel:DWORD
	v_cvt_f16_f32_e32 v21, v21
	v_cvt_f32_i32_e32 v36, v36
	s_waitcnt lgkmcnt(4)
	v_cvt_f32_f16_e32 v24, v40
	s_waitcnt lgkmcnt(2)
	v_cvt_f32_f16_e32 v26, v44
	v_cvt_f32_f16_e32 v61, v21
	v_pk_fma_f32 v[76:77], v[62:63], v[20:21], 0 op_sel_hi:[1,0,0]
	v_cvt_f32_f16_sdwa v32, v40 dst_sel:DWORD dst_unused:UNUSED_PAD src0_sel:WORD_1
	v_cvt_f32_f16_sdwa v34, v44 dst_sel:DWORD dst_unused:UNUSED_PAD src0_sel:WORD_1
	v_pk_fma_f32 v[70:71], v[60:61], v[20:21], 0 op_sel_hi:[1,0,0]
	v_sub_u32_sdwa v40, v17, v122 dst_sel:DWORD dst_unused:UNUSED_PAD src0_sel:BYTE_2 src1_sel:DWORD
	v_sub_u32_sdwa v44, v16, v123 dst_sel:DWORD dst_unused:UNUSED_PAD src0_sel:BYTE_2 src1_sel:DWORD
	v_cvt_f16_f32_e32 v36, v36
	v_cvt_f32_i32_e32 v40, v40
	v_cvt_f32_i32_e32 v44, v44
	s_waitcnt lgkmcnt(0)
	v_cvt_f32_f16_e32 v28, v48
	v_cvt_f32_f16_e32 v66, v36
	v_cvt_f32_f16_sdwa v36, v48 dst_sel:DWORD dst_unused:UNUSED_PAD src0_sel:WORD_1
	v_cvt_f16_f32_e32 v40, v40
	v_cvt_f16_f32_e32 v44, v44
	v_pk_fma_f32 v[72:73], v[60:61], v[24:25], 0 op_sel_hi:[1,0,0]
	v_pk_fma_f32 v[74:75], v[60:61], v[26:27], 0 op_sel_hi:[1,0,0]
	;; [unrolled: 1-line block ×10, first 2 shown]
	v_sub_u32_sdwa v33, v19, v125 dst_sel:DWORD dst_unused:UNUSED_PAD src0_sel:BYTE_2 src1_sel:DWORD
	v_pk_fma_f32 v[28:29], v[66:67], v[36:37], v[28:29] op_sel_hi:[1,0,1]
	v_sub_u32_sdwa v36, v18, v126 dst_sel:DWORD dst_unused:UNUSED_PAD src0_sel:BYTE_2 src1_sel:DWORD
	v_cvt_f32_f16_e32 v69, v40
	v_cvt_f32_f16_e32 v68, v44
	;; [unrolled: 1-line block ×4, first 2 shown]
	v_cvt_f32_i32_e32 v33, v33
	v_cvt_f32_i32_e32 v48, v36
	v_pk_fma_f32 v[72:73], v[64:65], v[34:35], v[74:75] op_sel_hi:[1,0,1]
	v_pk_fma_f32 v[26:27], v[66:67], v[34:35], v[26:27] op_sel_hi:[1,0,1]
	;; [unrolled: 1-line block ×4, first 2 shown]
	v_cvt_f16_f32_e32 v33, v33
	v_cvt_f16_f32_e32 v48, v48
	v_sub_u32_sdwa v17, v17, v122 dst_sel:DWORD dst_unused:UNUSED_PAD src0_sel:BYTE_3 src1_sel:DWORD
	v_sub_u32_sdwa v16, v16, v123 dst_sel:DWORD dst_unused:UNUSED_PAD src0_sel:BYTE_3 src1_sel:DWORD
	v_pk_fma_f32 v[30:31], v[66:67], v[30:31], v[76:77] op_sel_hi:[1,0,1]
	v_cvt_f32_f16_e32 v67, v33
	v_cvt_f32_f16_e32 v66, v48
	v_cvt_f32_i32_e32 v33, v17
	v_cvt_f32_i32_e32 v48, v16
	v_cvt_f32_f16_e32 v36, v45
	v_pk_fma_f32 v[16:17], v[66:67], v[40:41], v[30:31] op_sel_hi:[1,0,1]
	v_pk_fma_f32 v[24:25], v[66:67], v[32:33], v[24:25] op_sel_hi:[1,0,1]
	v_cvt_f16_f32_e32 v30, v33
	v_cvt_f16_f32_e32 v32, v48
	v_pk_fma_f32 v[64:65], v[68:69], v[36:37], v[72:73] op_sel_hi:[1,0,1]
	v_pk_fma_f32 v[26:27], v[66:67], v[36:37], v[26:27] op_sel_hi:[1,0,1]
	v_cvt_f32_f16_e32 v31, v30
	v_cvt_f32_f16_e32 v30, v32
	v_cvt_f32_f16_sdwa v32, v37 dst_sel:DWORD dst_unused:UNUSED_PAD src0_sel:WORD_1
	v_cvt_f32_f16_sdwa v36, v41 dst_sel:DWORD dst_unused:UNUSED_PAD src0_sel:WORD_1
	v_sub_u32_sdwa v33, v19, v125 dst_sel:DWORD dst_unused:UNUSED_PAD src0_sel:BYTE_3 src1_sel:DWORD
	v_sub_u32_sdwa v37, v18, v126 dst_sel:DWORD dst_unused:UNUSED_PAD src0_sel:BYTE_3 src1_sel:DWORD
	v_cvt_f32_f16_e32 v44, v49
	v_pk_fma_f32 v[18:19], v[30:31], v[32:33], v[34:35] op_sel_hi:[1,0,1]
	v_pk_fma_f32 v[34:35], v[30:31], v[36:37], v[62:63] op_sel_hi:[1,0,1]
	v_cvt_f32_i32_e32 v33, v33
	v_cvt_f32_i32_e32 v37, v37
	v_pk_fma_f32 v[60:61], v[68:69], v[44:45], v[60:61] op_sel_hi:[1,0,1]
	v_pk_fma_f32 v[28:29], v[66:67], v[44:45], v[28:29] op_sel_hi:[1,0,1]
	v_cvt_f32_f16_sdwa v40, v45 dst_sel:DWORD dst_unused:UNUSED_PAD src0_sel:WORD_1
	v_cvt_f32_f16_sdwa v44, v49 dst_sel:DWORD dst_unused:UNUSED_PAD src0_sel:WORD_1
	s_waitcnt vmcnt(1)
	v_addc_co_u32_e64 v23, vcc, v121, v23, s[0:1]
	global_load_dwordx4 v[20:23], v[22:23], off
	v_cvt_f16_f32_e32 v33, v33
	v_cvt_f16_f32_e32 v37, v37
	v_pk_fma_f32 v[48:49], v[30:31], v[40:41], v[64:65] op_sel_hi:[1,0,1]
	v_pk_fma_f32 v[30:31], v[30:31], v[44:45], v[60:61] op_sel_hi:[1,0,1]
	v_cvt_f32_f16_e32 v61, v33
	v_cvt_f32_f16_e32 v60, v37
	s_waitcnt vmcnt(1)
	v_sub_u32_sdwa v33, v53, v122 dst_sel:DWORD dst_unused:UNUSED_PAD src0_sel:BYTE_0 src1_sel:DWORD
	v_sub_u32_sdwa v37, v52, v123 dst_sel:DWORD dst_unused:UNUSED_PAD src0_sel:BYTE_0 src1_sel:DWORD
	v_cvt_f32_i32_e32 v33, v33
	v_cvt_f32_i32_e32 v37, v37
	v_pk_fma_f32 v[26:27], v[60:61], v[40:41], v[26:27] op_sel_hi:[1,0,1]
	v_sub_u32_sdwa v40, v54, v126 dst_sel:DWORD dst_unused:UNUSED_PAD src0_sel:BYTE_0 src1_sel:DWORD
	v_pk_fma_f32 v[16:17], v[60:61], v[32:33], v[16:17] op_sel_hi:[1,0,1]
	v_pk_fma_f32 v[24:25], v[60:61], v[36:37], v[24:25] op_sel_hi:[1,0,1]
	v_cvt_f16_f32_e32 v32, v33
	v_cvt_f16_f32_e32 v36, v37
	v_sub_u32_sdwa v37, v55, v125 dst_sel:DWORD dst_unused:UNUSED_PAD src0_sel:BYTE_0 src1_sel:DWORD
	v_cvt_f32_i32_e32 v37, v37
	v_cvt_f32_f16_e32 v33, v32
	v_cvt_f32_f16_e32 v32, v36
	;; [unrolled: 1-line block ×3, first 2 shown]
	v_cvt_f32_i32_e32 v40, v40
	v_pk_fma_f32 v[28:29], v[60:61], v[44:45], v[28:29] op_sel_hi:[1,0,1]
	v_cvt_f32_f16_e32 v56, v50
	v_pk_fma_f32 v[86:87], v[32:33], v[36:37], v[34:35] op_sel_hi:[1,0,1]
	v_cvt_f16_f32_e32 v35, v37
	v_cvt_f16_f32_e32 v37, v40
	v_cvt_f32_f16_e32 v40, v38
	v_cvt_f32_f16_e32 v34, v46
	;; [unrolled: 1-line block ×4, first 2 shown]
	v_pk_fma_f32 v[94:95], v[32:33], v[40:41], v[18:19] op_sel_hi:[1,0,1]
	v_pk_fma_f32 v[90:91], v[32:33], v[34:35], v[48:49] op_sel_hi:[1,0,1]
	;; [unrolled: 1-line block ×5, first 2 shown]
	v_cvt_f32_f16_e32 v34, v4
	v_pk_fma_f32 v[44:45], v[60:61], v[36:37], v[24:25] op_sel_hi:[1,0,1]
	v_pk_fma_f32 v[88:89], v[60:61], v[56:57], v[28:29] op_sel_hi:[1,0,1]
	v_cvt_f32_f16_sdwa v28, v4 dst_sel:DWORD dst_unused:UNUSED_PAD src0_sel:WORD_1
	v_cvt_f32_f16_e32 v26, v8
	ds_read_b128 v[30:33], v124 offset:784
	v_cvt_f32_f16_sdwa v4, v8 dst_sel:DWORD dst_unused:UNUSED_PAD src0_sel:WORD_1
	v_cvt_f32_f16_e32 v36, v12
	v_cvt_f32_f16_sdwa v8, v12 dst_sel:DWORD dst_unused:UNUSED_PAD src0_sel:WORD_1
	s_waitcnt lgkmcnt(0)
	v_cvt_f32_f16_e32 v12, v30
	v_cvt_f32_f16_sdwa v30, v30 dst_sel:DWORD dst_unused:UNUSED_PAD src0_sel:WORD_1
	s_waitcnt vmcnt(0)
	v_sub_u32_sdwa v16, v21, v122 dst_sel:DWORD dst_unused:UNUSED_PAD src0_sel:BYTE_0 src1_sel:DWORD
	v_sub_u32_sdwa v17, v20, v123 dst_sel:DWORD dst_unused:UNUSED_PAD src0_sel:BYTE_0 src1_sel:DWORD
	v_cvt_f32_i32_e32 v16, v16
	v_cvt_f32_i32_e32 v17, v17
	v_sub_u32_sdwa v18, v21, v122 dst_sel:DWORD dst_unused:UNUSED_PAD src0_sel:BYTE_1 src1_sel:DWORD
	v_sub_u32_sdwa v19, v20, v123 dst_sel:DWORD dst_unused:UNUSED_PAD src0_sel:BYTE_1 src1_sel:DWORD
	v_cvt_f32_i32_e32 v18, v18
	v_cvt_f32_i32_e32 v19, v19
	v_cvt_f16_f32_e32 v16, v16
	v_cvt_f16_f32_e32 v17, v17
	;; [unrolled: 1-line block ×4, first 2 shown]
	v_cvt_f32_f16_e32 v63, v16
	v_cvt_f32_f16_e32 v62, v17
	;; [unrolled: 1-line block ×4, first 2 shown]
	v_sub_u32_sdwa v56, v23, v125 dst_sel:DWORD dst_unused:UNUSED_PAD src0_sel:BYTE_2 src1_sel:DWORD
	v_pk_fma_f32 v[16:17], v[62:63], v[34:35], 0 op_sel_hi:[1,0,0]
	v_pk_fma_f32 v[18:19], v[62:63], v[26:27], 0 op_sel_hi:[1,0,0]
	v_pk_fma_f32 v[16:17], v[60:61], v[28:29], v[16:17] op_sel_hi:[1,0,1]
	v_sub_u32_sdwa v27, v23, v125 dst_sel:DWORD dst_unused:UNUSED_PAD src0_sel:BYTE_0 src1_sel:DWORD
	v_sub_u32_sdwa v29, v22, v126 dst_sel:DWORD dst_unused:UNUSED_PAD src0_sel:BYTE_0 src1_sel:DWORD
	v_cvt_f32_i32_e32 v27, v27
	v_cvt_f32_i32_e32 v29, v29
	v_pk_fma_f32 v[24:25], v[62:63], v[36:37], 0 op_sel_hi:[1,0,0]
	v_pk_fma_f32 v[62:63], v[62:63], v[12:13], 0 op_sel_hi:[1,0,0]
	v_cvt_f16_f32_e32 v27, v27
	v_cvt_f16_f32_e32 v29, v29
	v_pk_fma_f32 v[18:19], v[60:61], v[4:5], v[18:19] op_sel_hi:[1,0,1]
	v_pk_fma_f32 v[24:25], v[60:61], v[8:9], v[24:25] op_sel_hi:[1,0,1]
	v_pk_fma_f32 v[60:61], v[60:61], v[30:31], v[62:63] op_sel_hi:[1,0,1]
	v_cvt_f32_f16_e32 v63, v27
	v_cvt_f32_f16_e32 v62, v29
	v_sub_u32_sdwa v27, v23, v125 dst_sel:DWORD dst_unused:UNUSED_PAD src0_sel:BYTE_1 src1_sel:DWORD
	v_sub_u32_sdwa v29, v22, v126 dst_sel:DWORD dst_unused:UNUSED_PAD src0_sel:BYTE_1 src1_sel:DWORD
	v_cvt_f32_i32_e32 v27, v27
	v_cvt_f32_i32_e32 v29, v29
	v_pk_fma_f32 v[34:35], v[62:63], v[34:35], 0 op_sel_hi:[1,0,0]
	v_cvt_f32_i32_e32 v56, v56
	v_cvt_f16_f32_e32 v27, v27
	v_cvt_f16_f32_e32 v29, v29
	v_sub_u32_sdwa v23, v23, v125 dst_sel:DWORD dst_unused:UNUSED_PAD src0_sel:BYTE_3 src1_sel:DWORD
	v_cvt_f16_f32_e32 v56, v56
	v_cvt_f32_f16_e32 v65, v27
	v_cvt_f32_f16_e32 v64, v29
	v_pk_fma_f32 v[26:27], v[62:63], v[26:27], 0 op_sel_hi:[1,0,0]
	v_pk_fma_f32 v[28:29], v[64:65], v[28:29], v[34:35] op_sel_hi:[1,0,1]
	;; [unrolled: 1-line block ×5, first 2 shown]
	v_sub_u32_sdwa v4, v21, v122 dst_sel:DWORD dst_unused:UNUSED_PAD src0_sel:BYTE_2 src1_sel:DWORD
	v_sub_u32_sdwa v8, v20, v123 dst_sel:DWORD dst_unused:UNUSED_PAD src0_sel:BYTE_2 src1_sel:DWORD
	v_cvt_f32_i32_e32 v4, v4
	v_cvt_f32_i32_e32 v8, v8
	v_pk_fma_f32 v[36:37], v[62:63], v[12:13], 0 op_sel_hi:[1,0,0]
	v_pk_fma_f32 v[36:37], v[64:65], v[30:31], v[36:37] op_sel_hi:[1,0,1]
	v_cvt_f16_f32_e32 v4, v4
	v_cvt_f16_f32_e32 v8, v8
	v_cvt_f32_f16_e32 v30, v31
	v_cvt_f32_f16_e32 v12, v13
	;; [unrolled: 1-line block ×6, first 2 shown]
	v_pk_fma_f32 v[64:65], v[62:63], v[30:31], v[60:61] op_sel_hi:[1,0,1]
	v_sub_u32_sdwa v60, v22, v126 dst_sel:DWORD dst_unused:UNUSED_PAD src0_sel:BYTE_2 src1_sel:DWORD
	v_cvt_f32_i32_e32 v60, v60
	v_cvt_f32_f16_e32 v61, v56
	v_pk_fma_f32 v[16:17], v[62:63], v[4:5], v[16:17] op_sel_hi:[1,0,1]
	v_pk_fma_f32 v[18:19], v[62:63], v[8:9], v[18:19] op_sel_hi:[1,0,1]
	v_cvt_f16_f32_e32 v60, v60
	v_pk_fma_f32 v[24:25], v[62:63], v[12:13], v[24:25] op_sel_hi:[1,0,1]
	v_sub_u32_sdwa v22, v22, v126 dst_sel:DWORD dst_unused:UNUSED_PAD src0_sel:BYTE_3 src1_sel:DWORD
	v_cvt_f32_f16_e32 v60, v60
	v_pk_fma_f32 v[28:29], v[60:61], v[4:5], v[28:29] op_sel_hi:[1,0,1]
	v_pk_fma_f32 v[26:27], v[60:61], v[8:9], v[26:27] op_sel_hi:[1,0,1]
	v_sub_u32_sdwa v4, v21, v122 dst_sel:DWORD dst_unused:UNUSED_PAD src0_sel:BYTE_3 src1_sel:DWORD
	v_sub_u32_sdwa v8, v20, v123 dst_sel:DWORD dst_unused:UNUSED_PAD src0_sel:BYTE_3 src1_sel:DWORD
	v_cvt_f32_i32_e32 v4, v4
	v_cvt_f32_i32_e32 v8, v8
	v_pk_fma_f32 v[34:35], v[60:61], v[12:13], v[34:35] op_sel_hi:[1,0,1]
	v_pk_fma_f32 v[36:37], v[60:61], v[30:31], v[36:37] op_sel_hi:[1,0,1]
	v_cvt_f16_f32_e32 v4, v4
	v_cvt_f16_f32_e32 v8, v8
	v_cvt_f32_f16_sdwa v12, v31 dst_sel:DWORD dst_unused:UNUSED_PAD src0_sel:WORD_1
	v_cvt_f32_f16_e32 v21, v4
	v_cvt_f32_f16_e32 v20, v8
	v_cvt_f32_f16_sdwa v4, v9 dst_sel:DWORD dst_unused:UNUSED_PAD src0_sel:WORD_1
	v_cvt_f32_f16_sdwa v8, v13 dst_sel:DWORD dst_unused:UNUSED_PAD src0_sel:WORD_1
	v_pk_fma_f32 v[82:83], v[20:21], v[12:13], v[64:65] op_sel_hi:[1,0,1]
	v_pk_fma_f32 v[60:61], v[20:21], v[4:5], v[18:19] op_sel_hi:[1,0,1]
	;; [unrolled: 1-line block ×3, first 2 shown]
	v_cvt_f32_f16_sdwa v18, v5 dst_sel:DWORD dst_unused:UNUSED_PAD src0_sel:WORD_1
	v_cvt_f32_i32_e32 v5, v23
	v_cvt_f32_i32_e32 v9, v22
	v_pk_fma_f32 v[84:85], v[20:21], v[18:19], v[16:17] op_sel_hi:[1,0,1]
	v_cvt_f16_f32_e32 v5, v5
	v_cvt_f16_f32_e32 v9, v9
	ds_read_b128 v[20:23], v124 offset:32
	v_cvt_f32_f16_e32 v17, v5
	v_cvt_f32_f16_e32 v16, v9
	v_pk_fma_f32 v[66:67], v[16:17], v[4:5], v[26:27] op_sel_hi:[1,0,1]
	buffer_load_dword v4, off, s[28:31], 0 offset:32 ; 4-byte Folded Reload
	buffer_load_dword v5, off, s[28:31], 0 offset:36 ; 4-byte Folded Reload
	v_pk_fma_f32 v[68:69], v[16:17], v[8:9], v[34:35] op_sel_hi:[1,0,1]
	v_pk_fma_f32 v[70:71], v[16:17], v[12:13], v[36:37] op_sel_hi:[1,0,1]
	;; [unrolled: 1-line block ×3, first 2 shown]
	ds_read_b128 v[28:31], v124 offset:288
	ds_read_b128 v[24:27], v124 offset:544
	s_waitcnt lgkmcnt(1)
	v_cvt_f32_f16_e32 v56, v28
	v_cvt_f32_f16_sdwa v28, v28 dst_sel:DWORD dst_unused:UNUSED_PAD src0_sel:WORD_1
	s_waitcnt lgkmcnt(0)
	v_cvt_f32_f16_e32 v76, v24
	v_cvt_f32_f16_sdwa v24, v24 dst_sel:DWORD dst_unused:UNUSED_PAD src0_sel:WORD_1
	s_waitcnt vmcnt(1)
	v_add_co_u32_e32 v4, vcc, s12, v4
	s_waitcnt vmcnt(0)
	v_addc_co_u32_e32 v5, vcc, v121, v5, vcc
	global_load_dwordx4 v[34:37], v[4:5], off offset:-8
	s_waitcnt vmcnt(0)
	v_sub_u32_sdwa v4, v35, v122 dst_sel:DWORD dst_unused:UNUSED_PAD src0_sel:BYTE_0 src1_sel:DWORD
	v_sub_u32_sdwa v5, v34, v123 dst_sel:DWORD dst_unused:UNUSED_PAD src0_sel:BYTE_0 src1_sel:DWORD
	v_cvt_f32_i32_e32 v4, v4
	v_cvt_f32_i32_e32 v5, v5
	v_sub_u32_sdwa v9, v34, v123 dst_sel:DWORD dst_unused:UNUSED_PAD src0_sel:BYTE_1 src1_sel:DWORD
	v_cvt_f32_i32_e32 v9, v9
	v_cvt_f16_f32_e32 v4, v4
	v_cvt_f16_f32_e32 v8, v5
	;; [unrolled: 1-line block ×3, first 2 shown]
	v_cvt_f32_f16_e32 v5, v4
	v_cvt_f32_f16_e32 v4, v8
	v_sub_u32_sdwa v8, v35, v122 dst_sel:DWORD dst_unused:UNUSED_PAD src0_sel:BYTE_1 src1_sel:DWORD
	v_cvt_f32_i32_e32 v8, v8
	v_cvt_f16_f32_e32 v8, v8
	v_cvt_f32_f16_e32 v9, v8
	v_cvt_f32_f16_e32 v8, v12
	;; [unrolled: 1-line block ×3, first 2 shown]
	v_cvt_f32_f16_sdwa v20, v20 dst_sel:DWORD dst_unused:UNUSED_PAD src0_sel:WORD_1
	v_pk_fma_f32 v[16:17], v[4:5], v[12:13], 0 op_sel_hi:[1,0,0]
	v_pk_fma_f32 v[72:73], v[8:9], v[20:21], v[16:17] op_sel_hi:[1,0,1]
	;; [unrolled: 1-line block ×6, first 2 shown]
	ds_read_b128 v[16:19], v124 offset:800
	s_waitcnt lgkmcnt(0)
	v_cvt_f32_f16_e32 v80, v16
	v_cvt_f32_f16_sdwa v16, v16 dst_sel:DWORD dst_unused:UNUSED_PAD src0_sel:WORD_1
	v_pk_fma_f32 v[4:5], v[4:5], v[80:81], 0 op_sel_hi:[1,0,0]
	v_pk_fma_f32 v[106:107], v[8:9], v[16:17], v[4:5] op_sel_hi:[1,0,1]
	v_sub_u32_sdwa v4, v37, v125 dst_sel:DWORD dst_unused:UNUSED_PAD src0_sel:BYTE_0 src1_sel:DWORD
	v_sub_u32_sdwa v5, v36, v126 dst_sel:DWORD dst_unused:UNUSED_PAD src0_sel:BYTE_0 src1_sel:DWORD
	v_cvt_f32_i32_e32 v4, v4
	v_cvt_f32_i32_e32 v5, v5
	v_sub_u32_sdwa v9, v36, v126 dst_sel:DWORD dst_unused:UNUSED_PAD src0_sel:BYTE_1 src1_sel:DWORD
	v_cvt_f32_i32_e32 v9, v9
	v_cvt_f16_f32_e32 v4, v4
	v_cvt_f16_f32_e32 v8, v5
	;; [unrolled: 1-line block ×3, first 2 shown]
	v_cvt_f32_f16_e32 v5, v4
	v_cvt_f32_f16_e32 v4, v8
	v_sub_u32_sdwa v8, v37, v125 dst_sel:DWORD dst_unused:UNUSED_PAD src0_sel:BYTE_1 src1_sel:DWORD
	v_cvt_f32_i32_e32 v8, v8
	v_pk_fma_f32 v[108:109], v[4:5], v[56:57], 0 op_sel_hi:[1,0,0]
	v_pk_fma_f32 v[76:77], v[4:5], v[76:77], 0 op_sel_hi:[1,0,0]
	v_cvt_f16_f32_e32 v8, v8
	v_sub_u32_sdwa v56, v37, v125 dst_sel:DWORD dst_unused:UNUSED_PAD src0_sel:BYTE_2 src1_sel:DWORD
	v_cvt_f32_i32_e32 v56, v56
	v_cvt_f32_f16_e32 v9, v8
	v_cvt_f32_f16_e32 v8, v13
	v_pk_fma_f32 v[12:13], v[4:5], v[12:13], 0 op_sel_hi:[1,0,0]
	v_pk_fma_f32 v[4:5], v[4:5], v[80:81], 0 op_sel_hi:[1,0,0]
	v_cvt_f16_f32_e32 v56, v56
	v_pk_fma_f32 v[112:113], v[8:9], v[16:17], v[4:5] op_sel_hi:[1,0,1]
	v_sub_u32_sdwa v4, v35, v122 dst_sel:DWORD dst_unused:UNUSED_PAD src0_sel:BYTE_2 src1_sel:DWORD
	v_sub_u32_sdwa v5, v34, v123 dst_sel:DWORD dst_unused:UNUSED_PAD src0_sel:BYTE_2 src1_sel:DWORD
	v_cvt_f32_i32_e32 v4, v4
	v_cvt_f32_i32_e32 v5, v5
	v_pk_fma_f32 v[12:13], v[8:9], v[20:21], v[12:13] op_sel_hi:[1,0,1]
	v_pk_fma_f32 v[108:109], v[8:9], v[28:29], v[108:109] op_sel_hi:[1,0,1]
	v_cvt_f16_f32_e32 v4, v4
	v_cvt_f16_f32_e32 v5, v5
	v_pk_fma_f32 v[110:111], v[8:9], v[24:25], v[76:77] op_sel_hi:[1,0,1]
	v_cvt_f32_f16_e32 v16, v29
	v_cvt_f32_f16_e32 v81, v4
	;; [unrolled: 1-line block ×6, first 2 shown]
	v_pk_fma_f32 v[4:5], v[80:81], v[16:17], v[74:75] op_sel_hi:[1,0,1]
	v_pk_fma_f32 v[8:9], v[80:81], v[20:21], v[78:79] op_sel_hi:[1,0,1]
	v_pk_fma_f32 v[76:77], v[80:81], v[24:25], v[106:107] op_sel_hi:[1,0,1]
	v_pk_fma_f32 v[80:81], v[80:81], v[28:29], v[72:73] op_sel_hi:[1,0,1]
	v_sub_u32_sdwa v72, v36, v126 dst_sel:DWORD dst_unused:UNUSED_PAD src0_sel:BYTE_2 src1_sel:DWORD
	v_cvt_f32_i32_e32 v72, v72
	v_cvt_f32_f16_e32 v79, v56
	v_cvt_f16_f32_e32 v72, v72
	v_cvt_f32_f16_e32 v78, v72
	v_pk_fma_f32 v[72:73], v[78:79], v[16:17], v[108:109] op_sel_hi:[1,0,1]
	v_sub_u32_sdwa v16, v53, v122 dst_sel:DWORD dst_unused:UNUSED_PAD src0_sel:BYTE_1 src1_sel:DWORD
	v_cvt_f32_i32_e32 v16, v16
	v_pk_fma_f32 v[74:75], v[78:79], v[20:21], v[110:111] op_sel_hi:[1,0,1]
	v_sub_u32_sdwa v20, v52, v123 dst_sel:DWORD dst_unused:UNUSED_PAD src0_sel:BYTE_1 src1_sel:DWORD
	v_cvt_f32_i32_e32 v20, v20
	v_cvt_f16_f32_e32 v16, v16
	v_pk_fma_f32 v[12:13], v[78:79], v[28:29], v[12:13] op_sel_hi:[1,0,1]
	v_pk_fma_f32 v[78:79], v[78:79], v[24:25], v[112:113] op_sel_hi:[1,0,1]
	v_cvt_f32_f16_sdwa v24, v42 dst_sel:DWORD dst_unused:UNUSED_PAD src0_sel:WORD_1
	v_cvt_f32_f16_e32 v107, v16
	v_cvt_f32_f16_sdwa v16, v38 dst_sel:DWORD dst_unused:UNUSED_PAD src0_sel:WORD_1
	v_sub_u32_sdwa v38, v54, v126 dst_sel:DWORD dst_unused:UNUSED_PAD src0_sel:BYTE_1 src1_sel:DWORD
	v_sub_u32_sdwa v42, v55, v125 dst_sel:DWORD dst_unused:UNUSED_PAD src0_sel:BYTE_1 src1_sel:DWORD
	v_cvt_f16_f32_e32 v20, v20
	v_cvt_f32_i32_e32 v38, v38
	v_cvt_f32_i32_e32 v42, v42
	v_cvt_f32_f16_sdwa v28, v46 dst_sel:DWORD dst_unused:UNUSED_PAD src0_sel:WORD_1
	v_cvt_f32_f16_e32 v106, v20
	v_cvt_f32_f16_sdwa v20, v50 dst_sel:DWORD dst_unused:UNUSED_PAD src0_sel:WORD_1
	v_cvt_f16_f32_e32 v38, v38
	v_cvt_f16_f32_e32 v42, v42
	v_pk_fma_f32 v[94:95], v[106:107], v[16:17], v[94:95] op_sel_hi:[1,0,1]
	v_pk_fma_f32 v[92:93], v[106:107], v[20:21], v[92:93] op_sel_hi:[1,0,1]
	;; [unrolled: 1-line block ×4, first 2 shown]
	v_cvt_f32_f16_e32 v106, v38
	v_cvt_f32_f16_e32 v107, v42
	v_sub_u32_sdwa v38, v55, v125 dst_sel:DWORD dst_unused:UNUSED_PAD src0_sel:BYTE_2 src1_sel:DWORD
	v_sub_u32_sdwa v42, v54, v126 dst_sel:DWORD dst_unused:UNUSED_PAD src0_sel:BYTE_2 src1_sel:DWORD
	v_cvt_f32_i32_e32 v38, v38
	v_pk_fma_f32 v[88:89], v[106:107], v[20:21], v[88:89] op_sel_hi:[1,0,1]
	v_pk_fma_f32 v[40:41], v[106:107], v[16:17], v[40:41] op_sel_hi:[1,0,1]
	v_sub_u32_sdwa v16, v53, v122 dst_sel:DWORD dst_unused:UNUSED_PAD src0_sel:BYTE_2 src1_sel:DWORD
	v_sub_u32_sdwa v20, v52, v123 dst_sel:DWORD dst_unused:UNUSED_PAD src0_sel:BYTE_2 src1_sel:DWORD
	v_cvt_f32_i32_e32 v16, v16
	v_cvt_f32_i32_e32 v20, v20
	;; [unrolled: 1-line block ×3, first 2 shown]
	v_pk_fma_f32 v[44:45], v[106:107], v[24:25], v[44:45] op_sel_hi:[1,0,1]
	v_cvt_f16_f32_e32 v16, v16
	v_cvt_f16_f32_e32 v20, v20
	v_pk_fma_f32 v[48:49], v[106:107], v[28:29], v[48:49] op_sel_hi:[1,0,1]
	v_cvt_f32_f16_e32 v24, v43
	v_cvt_f32_f16_e32 v107, v16
	;; [unrolled: 1-line block ×6, first 2 shown]
	v_cvt_f16_f32_e32 v38, v38
	v_cvt_f16_f32_e32 v42, v42
	v_pk_fma_f32 v[94:95], v[106:107], v[16:17], v[94:95] op_sel_hi:[1,0,1]
	v_pk_fma_f32 v[92:93], v[106:107], v[20:21], v[92:93] op_sel_hi:[1,0,1]
	;; [unrolled: 1-line block ×4, first 2 shown]
	v_cvt_f32_f16_e32 v107, v38
	v_cvt_f32_f16_e32 v106, v42
	v_sub_u32_sdwa v38, v52, v123 dst_sel:DWORD dst_unused:UNUSED_PAD src0_sel:BYTE_3 src1_sel:DWORD
	v_sub_u32_sdwa v42, v53, v122 dst_sel:DWORD dst_unused:UNUSED_PAD src0_sel:BYTE_3 src1_sel:DWORD
	v_cvt_f32_i32_e32 v38, v38
	v_pk_fma_f32 v[40:41], v[106:107], v[16:17], v[40:41] op_sel_hi:[1,0,1]
	v_cvt_f32_f16_sdwa v16, v39 dst_sel:DWORD dst_unused:UNUSED_PAD src0_sel:WORD_1
	v_cvt_f32_i32_e32 v39, v42
	v_cvt_f16_f32_e32 v38, v38
	v_pk_fma_f32 v[88:89], v[106:107], v[20:21], v[88:89] op_sel_hi:[1,0,1]
	v_pk_fma_f32 v[108:109], v[106:107], v[24:25], v[44:45] op_sel_hi:[1,0,1]
	v_cvt_f16_f32_e32 v39, v39
	v_pk_fma_f32 v[106:107], v[106:107], v[28:29], v[48:49] op_sel_hi:[1,0,1]
	v_cvt_f32_f16_sdwa v20, v43 dst_sel:DWORD dst_unused:UNUSED_PAD src0_sel:WORD_1
	v_cvt_f32_f16_sdwa v24, v47 dst_sel:DWORD dst_unused:UNUSED_PAD src0_sel:WORD_1
	;; [unrolled: 1-line block ×3, first 2 shown]
	v_cvt_f32_f16_e32 v39, v39
	v_cvt_f32_f16_e32 v38, v38
	v_sub_u32_sdwa v44, v54, v126 dst_sel:DWORD dst_unused:UNUSED_PAD src0_sel:BYTE_3 src1_sel:DWORD
	v_sub_u32_sdwa v45, v55, v125 dst_sel:DWORD dst_unused:UNUSED_PAD src0_sel:BYTE_3 src1_sel:DWORD
	v_pk_fma_f32 v[50:51], v[38:39], v[16:17], v[94:95] op_sel_hi:[1,0,1]
	v_pk_fma_f32 v[52:53], v[38:39], v[28:29], v[92:93] op_sel_hi:[1,0,1]
	;; [unrolled: 1-line block ×4, first 2 shown]
	v_cvt_f32_i32_e32 v38, v45
	v_cvt_f32_i32_e32 v39, v44
	v_cvt_f16_f32_e32 v38, v38
	v_cvt_f16_f32_e32 v42, v39
	v_cvt_f32_f16_e32 v39, v38
	v_cvt_f32_f16_e32 v38, v42
	v_pk_fma_f32 v[42:43], v[38:39], v[16:17], v[40:41] op_sel_hi:[1,0,1]
	buffer_load_dword v16, off, s[28:31], 0 offset:8 ; 4-byte Folded Reload
	v_pk_fma_f32 v[44:45], v[38:39], v[28:29], v[88:89] op_sel_hi:[1,0,1]
	v_pk_fma_f32 v[40:41], v[38:39], v[20:21], v[108:109] op_sel_hi:[1,0,1]
	;; [unrolled: 1-line block ×3, first 2 shown]
	v_cvt_f32_f16_e32 v24, v10
	v_cvt_f32_f16_e32 v28, v14
	v_cvt_f32_f16_sdwa v10, v10 dst_sel:DWORD dst_unused:UNUSED_PAD src0_sel:WORD_1
	v_cvt_f32_f16_sdwa v14, v14 dst_sel:DWORD dst_unused:UNUSED_PAD src0_sel:WORD_1
	s_waitcnt vmcnt(0)
	v_add_co_u32_e32 v54, vcc, s12, v16
	buffer_load_dword v16, off, s[28:31], 0 offset:12 ; 4-byte Folded Reload
	s_waitcnt vmcnt(0)
	v_addc_co_u32_e32 v55, vcc, v121, v16, vcc
	global_load_dwordx4 v[86:89], v[54:55], off offset:-8
	s_waitcnt vmcnt(0)
	v_sub_u32_sdwa v16, v87, v122 dst_sel:DWORD dst_unused:UNUSED_PAD src0_sel:BYTE_0 src1_sel:DWORD
	v_sub_u32_sdwa v20, v86, v123 dst_sel:DWORD dst_unused:UNUSED_PAD src0_sel:BYTE_0 src1_sel:DWORD
	v_cvt_f32_i32_e32 v16, v16
	v_cvt_f32_i32_e32 v20, v20
	v_sub_u32_sdwa v56, v88, v126 dst_sel:DWORD dst_unused:UNUSED_PAD src0_sel:BYTE_0 src1_sel:DWORD
	v_cvt_f32_i32_e32 v56, v56
	v_cvt_f16_f32_e32 v16, v16
	v_cvt_f16_f32_e32 v20, v20
	v_cvt_f16_f32_e32 v56, v56
	v_cvt_f32_f16_e32 v55, v16
	v_cvt_f32_f16_e32 v54, v20
	;; [unrolled: 1-line block ×4, first 2 shown]
	v_cvt_f32_f16_sdwa v6, v6 dst_sel:DWORD dst_unused:UNUSED_PAD src0_sel:WORD_1
	v_pk_fma_f32 v[60:61], v[54:55], v[24:25], v[60:61] op_sel_hi:[1,0,1]
	v_pk_fma_f32 v[84:85], v[54:55], v[16:17], v[84:85] op_sel_hi:[1,0,1]
	;; [unrolled: 1-line block ×4, first 2 shown]
	v_sub_u32_sdwa v62, v89, v125 dst_sel:DWORD dst_unused:UNUSED_PAD src0_sel:BYTE_0 src1_sel:DWORD
	v_cvt_f32_i32_e32 v62, v62
	v_cvt_f16_f32_e32 v63, v62
	v_cvt_f32_f16_e32 v62, v56
	v_sub_u32_sdwa v56, v88, v126 dst_sel:DWORD dst_unused:UNUSED_PAD src0_sel:BYTE_3 src1_sel:DWORD
	v_cvt_f32_f16_e32 v63, v63
	v_pk_fma_f32 v[70:71], v[62:63], v[20:21], v[70:71] op_sel_hi:[1,0,1]
	v_sub_u32_sdwa v20, v86, v123 dst_sel:DWORD dst_unused:UNUSED_PAD src0_sel:BYTE_1 src1_sel:DWORD
	v_cvt_f32_i32_e32 v20, v20
	v_pk_fma_f32 v[64:65], v[62:63], v[16:17], v[64:65] op_sel_hi:[1,0,1]
	v_sub_u32_sdwa v16, v87, v122 dst_sel:DWORD dst_unused:UNUSED_PAD src0_sel:BYTE_1 src1_sel:DWORD
	v_cvt_f32_i32_e32 v16, v16
	v_cvt_f16_f32_e32 v20, v20
	v_pk_fma_f32 v[66:67], v[62:63], v[24:25], v[66:67] op_sel_hi:[1,0,1]
	v_pk_fma_f32 v[62:63], v[62:63], v[28:29], v[68:69] op_sel_hi:[1,0,1]
	v_sub_u32_sdwa v24, v88, v126 dst_sel:DWORD dst_unused:UNUSED_PAD src0_sel:BYTE_1 src1_sel:DWORD
	v_cvt_f32_f16_e32 v68, v20
	v_sub_u32_sdwa v20, v89, v125 dst_sel:DWORD dst_unused:UNUSED_PAD src0_sel:BYTE_1 src1_sel:DWORD
	v_cvt_f16_f32_e32 v16, v16
	v_cvt_f32_i32_e32 v20, v20
	v_cvt_f32_i32_e32 v24, v24
	v_sub_u32_sdwa v28, v89, v125 dst_sel:DWORD dst_unused:UNUSED_PAD src0_sel:BYTE_3 src1_sel:DWORD
	v_cvt_f32_f16_e32 v69, v16
	v_cvt_f32_f16_sdwa v16, v32 dst_sel:DWORD dst_unused:UNUSED_PAD src0_sel:WORD_1
	v_cvt_f16_f32_e32 v20, v20
	v_cvt_f16_f32_e32 v24, v24
	v_pk_fma_f32 v[84:85], v[68:69], v[6:7], v[84:85] op_sel_hi:[1,0,1]
	v_pk_fma_f32 v[82:83], v[68:69], v[16:17], v[82:83] op_sel_hi:[1,0,1]
	;; [unrolled: 1-line block ×4, first 2 shown]
	v_cvt_f32_f16_e32 v69, v20
	v_cvt_f32_f16_e32 v68, v24
	v_sub_u32_sdwa v20, v89, v125 dst_sel:DWORD dst_unused:UNUSED_PAD src0_sel:BYTE_2 src1_sel:DWORD
	v_sub_u32_sdwa v24, v88, v126 dst_sel:DWORD dst_unused:UNUSED_PAD src0_sel:BYTE_2 src1_sel:DWORD
	v_cvt_f32_i32_e32 v20, v20
	v_pk_fma_f32 v[64:65], v[68:69], v[6:7], v[64:65] op_sel_hi:[1,0,1]
	v_pk_fma_f32 v[66:67], v[68:69], v[10:11], v[66:67] op_sel_hi:[1,0,1]
	v_sub_u32_sdwa v6, v87, v122 dst_sel:DWORD dst_unused:UNUSED_PAD src0_sel:BYTE_2 src1_sel:DWORD
	v_sub_u32_sdwa v10, v86, v123 dst_sel:DWORD dst_unused:UNUSED_PAD src0_sel:BYTE_2 src1_sel:DWORD
	v_cvt_f32_i32_e32 v6, v6
	v_cvt_f32_i32_e32 v10, v10
	;; [unrolled: 1-line block ×3, first 2 shown]
	v_pk_fma_f32 v[70:71], v[68:69], v[16:17], v[70:71] op_sel_hi:[1,0,1]
	v_cvt_f16_f32_e32 v6, v6
	v_cvt_f16_f32_e32 v10, v10
	v_pk_fma_f32 v[62:63], v[68:69], v[14:15], v[62:63] op_sel_hi:[1,0,1]
	v_cvt_f32_f16_e32 v14, v11
	v_cvt_f32_f16_e32 v69, v6
	;; [unrolled: 1-line block ×6, first 2 shown]
	v_cvt_f16_f32_e32 v20, v20
	v_cvt_f16_f32_e32 v24, v24
	v_pk_fma_f32 v[84:85], v[68:69], v[6:7], v[84:85] op_sel_hi:[1,0,1]
	v_pk_fma_f32 v[82:83], v[68:69], v[10:11], v[82:83] op_sel_hi:[1,0,1]
	;; [unrolled: 1-line block ×4, first 2 shown]
	v_cvt_f32_f16_e32 v69, v20
	v_cvt_f32_f16_e32 v68, v24
	v_sub_u32_sdwa v20, v87, v122 dst_sel:DWORD dst_unused:UNUSED_PAD src0_sel:BYTE_3 src1_sel:DWORD
	v_sub_u32_sdwa v24, v86, v123 dst_sel:DWORD dst_unused:UNUSED_PAD src0_sel:BYTE_3 src1_sel:DWORD
	v_pk_fma_f32 v[90:91], v[68:69], v[10:11], v[70:71] op_sel_hi:[1,0,1]
	v_pk_fma_f32 v[92:93], v[68:69], v[6:7], v[64:65] op_sel_hi:[1,0,1]
	v_cvt_f32_f16_sdwa v6, v7 dst_sel:DWORD dst_unused:UNUSED_PAD src0_sel:WORD_1
	v_cvt_f32_f16_sdwa v10, v11 dst_sel:DWORD dst_unused:UNUSED_PAD src0_sel:WORD_1
	v_cvt_f32_i32_e32 v7, v20
	v_cvt_f32_i32_e32 v11, v24
	v_pk_fma_f32 v[106:107], v[68:69], v[16:17], v[62:63] op_sel_hi:[1,0,1]
	v_cvt_f32_f16_sdwa v16, v33 dst_sel:DWORD dst_unused:UNUSED_PAD src0_sel:WORD_1
	v_cvt_f16_f32_e32 v7, v7
	v_cvt_f16_f32_e32 v11, v11
	v_pk_fma_f32 v[94:95], v[68:69], v[14:15], v[66:67] op_sel_hi:[1,0,1]
	v_cvt_f32_f16_sdwa v14, v15 dst_sel:DWORD dst_unused:UNUSED_PAD src0_sel:WORD_1
	v_cvt_f32_f16_e32 v33, v7
	v_cvt_f32_f16_e32 v32, v11
	v_pk_fma_f32 v[68:69], v[32:33], v[6:7], v[84:85] op_sel_hi:[1,0,1]
	v_pk_fma_f32 v[66:67], v[32:33], v[10:11], v[60:61] op_sel_hi:[1,0,1]
	v_cvt_f32_i32_e32 v7, v28
	v_cvt_f32_i32_e32 v11, v56
	v_pk_fma_f32 v[70:71], v[32:33], v[16:17], v[82:83] op_sel_hi:[1,0,1]
	v_pk_fma_f32 v[64:65], v[32:33], v[14:15], v[54:55] op_sel_hi:[1,0,1]
	v_cvt_f16_f32_e32 v7, v7
	v_cvt_f16_f32_e32 v11, v11
	v_cvt_f32_f16_sdwa v28, v17 dst_sel:DWORD dst_unused:UNUSED_PAD src0_sel:WORD_1
	v_cvt_f32_f16_e32 v56, v18
	v_cvt_f32_f16_e32 v33, v7
	;; [unrolled: 1-line block ×3, first 2 shown]
	v_cvt_f32_f16_sdwa v18, v18 dst_sel:DWORD dst_unused:UNUSED_PAD src0_sel:WORD_1
	v_pk_fma_f32 v[60:61], v[32:33], v[6:7], v[92:93] op_sel_hi:[1,0,1]
	v_sub_u32_sdwa v6, v34, v123 dst_sel:DWORD dst_unused:UNUSED_PAD src0_sel:BYTE_3 src1_sel:DWORD
	v_sub_u32_sdwa v7, v35, v122 dst_sel:DWORD dst_unused:UNUSED_PAD src0_sel:BYTE_3 src1_sel:DWORD
	v_cvt_f32_i32_e32 v7, v7
	v_cvt_f32_i32_e32 v6, v6
	v_cvt_f32_f16_sdwa v34, v29 dst_sel:DWORD dst_unused:UNUSED_PAD src0_sel:WORD_1
	v_pk_fma_f32 v[54:55], v[32:33], v[10:11], v[94:95] op_sel_hi:[1,0,1]
	v_cvt_f16_f32_e32 v7, v7
	v_cvt_f16_f32_e32 v6, v6
	v_sub_u32_sdwa v11, v36, v126 dst_sel:DWORD dst_unused:UNUSED_PAD src0_sel:BYTE_3 src1_sel:DWORD
	v_sub_u32_sdwa v35, v37, v125 dst_sel:DWORD dst_unused:UNUSED_PAD src0_sel:BYTE_3 src1_sel:DWORD
	v_cvt_f32_f16_e32 v7, v7
	v_cvt_f32_f16_e32 v6, v6
	v_cvt_f32_f16_sdwa v10, v21 dst_sel:DWORD dst_unused:UNUSED_PAD src0_sel:WORD_1
	v_pk_fma_f32 v[62:63], v[32:33], v[16:17], v[90:91] op_sel_hi:[1,0,1]
	v_cvt_f32_f16_sdwa v36, v25 dst_sel:DWORD dst_unused:UNUSED_PAD src0_sel:WORD_1
	v_pk_fma_f32 v[20:21], v[6:7], v[34:35], v[4:5] op_sel_hi:[1,0,1]
	v_cvt_f32_i32_e32 v4, v11
	v_cvt_f32_i32_e32 v5, v35
	v_pk_fma_f32 v[16:17], v[6:7], v[28:29], v[76:77] op_sel_hi:[1,0,1]
	v_pk_fma_f32 v[32:33], v[32:33], v[14:15], v[106:107] op_sel_hi:[1,0,1]
	v_cvt_f16_f32_e32 v4, v4
	v_cvt_f16_f32_e32 v5, v5
	v_pk_fma_f32 v[14:15], v[6:7], v[10:11], v[80:81] op_sel_hi:[1,0,1]
	v_pk_fma_f32 v[24:25], v[6:7], v[36:37], v[8:9] op_sel_hi:[1,0,1]
	v_cvt_f32_f16_e32 v76, v4
	v_cvt_f32_f16_e32 v77, v5
	v_pk_fma_f32 v[6:7], v[76:77], v[10:11], v[12:13] op_sel_hi:[1,0,1]
	buffer_load_dword v12, off, s[28:31], 0 offset:40 ; 4-byte Folded Reload
	buffer_load_dword v13, off, s[28:31], 0 offset:44 ; 4-byte Folded Reload
	v_pk_fma_f32 v[8:9], v[76:77], v[34:35], v[72:73] op_sel_hi:[1,0,1]
	v_pk_fma_f32 v[10:11], v[76:77], v[36:37], v[74:75] op_sel_hi:[1,0,1]
	;; [unrolled: 1-line block ×3, first 2 shown]
	v_cvt_f32_f16_e32 v72, v30
	v_cvt_f32_f16_e32 v74, v26
	v_cvt_f32_f16_sdwa v26, v26 dst_sel:DWORD dst_unused:UNUSED_PAD src0_sel:WORD_1
	s_waitcnt vmcnt(1)
	v_add_co_u32_e32 v12, vcc, s12, v12
	s_waitcnt vmcnt(0)
	v_addc_co_u32_e32 v13, vcc, v121, v13, vcc
	global_load_dwordx4 v[34:37], v[12:13], off offset:-8
	s_waitcnt vmcnt(0)
	v_sub_u32_sdwa v12, v35, v122 dst_sel:DWORD dst_unused:UNUSED_PAD src0_sel:BYTE_0 src1_sel:DWORD
	v_sub_u32_sdwa v13, v34, v123 dst_sel:DWORD dst_unused:UNUSED_PAD src0_sel:BYTE_0 src1_sel:DWORD
	v_cvt_f32_i32_e32 v12, v12
	v_cvt_f32_i32_e32 v13, v13
	v_cvt_f16_f32_e32 v12, v12
	v_cvt_f16_f32_e32 v28, v13
	v_cvt_f32_f16_e32 v13, v12
	v_cvt_f32_f16_e32 v12, v28
	;; [unrolled: 1-line block ×3, first 2 shown]
	v_cvt_f32_f16_sdwa v22, v22 dst_sel:DWORD dst_unused:UNUSED_PAD src0_sel:WORD_1
	v_pk_fma_f32 v[16:17], v[12:13], v[56:57], v[16:17] op_sel_hi:[1,0,1]
	v_pk_fma_f32 v[14:15], v[12:13], v[28:29], v[14:15] op_sel_hi:[1,0,1]
	;; [unrolled: 1-line block ×4, first 2 shown]
	v_sub_u32_sdwa v24, v37, v125 dst_sel:DWORD dst_unused:UNUSED_PAD src0_sel:BYTE_0 src1_sel:DWORD
	v_sub_u32_sdwa v25, v36, v126 dst_sel:DWORD dst_unused:UNUSED_PAD src0_sel:BYTE_0 src1_sel:DWORD
	v_cvt_f32_i32_e32 v24, v24
	v_cvt_f32_i32_e32 v25, v25
	v_cvt_f16_f32_e32 v24, v24
	v_cvt_f16_f32_e32 v29, v25
	v_cvt_f32_f16_e32 v25, v24
	v_cvt_f32_f16_e32 v24, v29
	v_pk_fma_f32 v[4:5], v[24:25], v[56:57], v[4:5] op_sel_hi:[1,0,1]
	v_pk_fma_f32 v[6:7], v[24:25], v[28:29], v[6:7] op_sel_hi:[1,0,1]
	;; [unrolled: 1-line block ×4, first 2 shown]
	v_sub_u32_sdwa v24, v35, v122 dst_sel:DWORD dst_unused:UNUSED_PAD src0_sel:BYTE_1 src1_sel:DWORD
	v_sub_u32_sdwa v25, v34, v123 dst_sel:DWORD dst_unused:UNUSED_PAD src0_sel:BYTE_1 src1_sel:DWORD
	v_cvt_f32_i32_e32 v24, v24
	v_cvt_f32_i32_e32 v25, v25
	v_cvt_f32_f16_sdwa v56, v27 dst_sel:DWORD dst_unused:UNUSED_PAD src0_sel:WORD_1
	v_cvt_f16_f32_e32 v24, v24
	v_cvt_f16_f32_e32 v28, v25
	v_cvt_f32_f16_e32 v25, v24
	v_cvt_f32_f16_e32 v24, v28
	v_cvt_f32_f16_sdwa v28, v30 dst_sel:DWORD dst_unused:UNUSED_PAD src0_sel:WORD_1
	v_pk_fma_f32 v[14:15], v[24:25], v[22:23], v[14:15] op_sel_hi:[1,0,1]
	v_pk_fma_f32 v[16:17], v[24:25], v[18:19], v[16:17] op_sel_hi:[1,0,1]
	;; [unrolled: 1-line block ×4, first 2 shown]
	v_sub_u32_sdwa v24, v37, v125 dst_sel:DWORD dst_unused:UNUSED_PAD src0_sel:BYTE_1 src1_sel:DWORD
	v_sub_u32_sdwa v25, v36, v126 dst_sel:DWORD dst_unused:UNUSED_PAD src0_sel:BYTE_1 src1_sel:DWORD
	v_cvt_f32_i32_e32 v24, v24
	v_cvt_f32_i32_e32 v25, v25
	v_cvt_f16_f32_e32 v24, v24
	v_cvt_f16_f32_e32 v29, v25
	v_cvt_f32_f16_e32 v25, v24
	v_cvt_f32_f16_e32 v24, v29
	v_pk_fma_f32 v[4:5], v[24:25], v[18:19], v[4:5] op_sel_hi:[1,0,1]
	v_pk_fma_f32 v[6:7], v[24:25], v[22:23], v[6:7] op_sel_hi:[1,0,1]
	v_sub_u32_sdwa v18, v35, v122 dst_sel:DWORD dst_unused:UNUSED_PAD src0_sel:BYTE_2 src1_sel:DWORD
	v_sub_u32_sdwa v22, v34, v123 dst_sel:DWORD dst_unused:UNUSED_PAD src0_sel:BYTE_2 src1_sel:DWORD
	v_cvt_f32_i32_e32 v18, v18
	v_cvt_f32_i32_e32 v22, v22
	v_pk_fma_f32 v[8:9], v[24:25], v[28:29], v[8:9] op_sel_hi:[1,0,1]
	v_pk_fma_f32 v[10:11], v[24:25], v[26:27], v[10:11] op_sel_hi:[1,0,1]
	v_cvt_f16_f32_e32 v18, v18
	v_cvt_f16_f32_e32 v22, v22
	v_cvt_f32_f16_e32 v26, v31
	v_cvt_f32_f16_e32 v28, v27
	v_cvt_f32_f16_e32 v25, v18
	v_cvt_f32_f16_e32 v24, v22
	v_cvt_f32_f16_e32 v18, v23
	v_cvt_f32_f16_e32 v22, v19
	v_pk_fma_f32 v[20:21], v[24:25], v[26:27], v[20:21] op_sel_hi:[1,0,1]
	v_pk_fma_f32 v[14:15], v[24:25], v[18:19], v[14:15] op_sel_hi:[1,0,1]
	;; [unrolled: 1-line block ×4, first 2 shown]
	v_sub_u32_sdwa v24, v37, v125 dst_sel:DWORD dst_unused:UNUSED_PAD src0_sel:BYTE_2 src1_sel:DWORD
	v_sub_u32_sdwa v25, v36, v126 dst_sel:DWORD dst_unused:UNUSED_PAD src0_sel:BYTE_2 src1_sel:DWORD
	v_cvt_f32_i32_e32 v24, v24
	v_cvt_f32_i32_e32 v25, v25
	v_cvt_f16_f32_e32 v24, v24
	v_cvt_f16_f32_e32 v29, v25
	v_cvt_f32_f16_e32 v25, v24
	v_cvt_f32_f16_e32 v24, v29
	v_pk_fma_f32 v[72:73], v[24:25], v[22:23], v[4:5] op_sel_hi:[1,0,1]
	buffer_load_dword v4, off, s[28:31], 0 offset:52 ; 4-byte Folded Reload
	v_pk_fma_f32 v[74:75], v[24:25], v[18:19], v[6:7] op_sel_hi:[1,0,1]
	v_pk_fma_f32 v[8:9], v[24:25], v[26:27], v[8:9] op_sel_hi:[1,0,1]
	;; [unrolled: 1-line block ×3, first 2 shown]
	v_sub_u32_sdwa v24, v35, v122 dst_sel:DWORD dst_unused:UNUSED_PAD src0_sel:BYTE_3 src1_sel:DWORD
	v_sub_u32_sdwa v25, v34, v123 dst_sel:DWORD dst_unused:UNUSED_PAD src0_sel:BYTE_3 src1_sel:DWORD
	v_cvt_f32_f16_sdwa v18, v23 dst_sel:DWORD dst_unused:UNUSED_PAD src0_sel:WORD_1
	v_cvt_f32_i32_e32 v23, v24
	v_cvt_f32_i32_e32 v24, v25
	v_sub_u32_sdwa v26, v37, v125 dst_sel:DWORD dst_unused:UNUSED_PAD src0_sel:BYTE_3 src1_sel:DWORD
	v_sub_u32_sdwa v28, v36, v126 dst_sel:DWORD dst_unused:UNUSED_PAD src0_sel:BYTE_3 src1_sel:DWORD
	v_cvt_f16_f32_e32 v23, v23
	v_cvt_f16_f32_e32 v24, v24
	v_cvt_f32_i32_e32 v26, v26
	v_cvt_f32_i32_e32 v27, v28
	v_cvt_f32_f16_e32 v25, v23
	v_cvt_f32_f16_e32 v24, v24
	v_cvt_f16_f32_e32 v23, v26
	v_cvt_f16_f32_e32 v27, v27
	v_cvt_f32_f16_sdwa v22, v31 dst_sel:DWORD dst_unused:UNUSED_PAD src0_sel:WORD_1
	v_pk_fma_f32 v[30:31], v[24:25], v[18:19], v[14:15] op_sel_hi:[1,0,1]
	v_cvt_f32_f16_e32 v15, v23
	v_cvt_f32_f16_e32 v14, v27
	v_pk_fma_f32 v[34:35], v[24:25], v[22:23], v[20:21] op_sel_hi:[1,0,1]
	v_pk_fma_f32 v[28:29], v[24:25], v[56:57], v[12:13] op_sel_hi:[1,0,1]
	v_cvt_f32_f16_sdwa v26, v19 dst_sel:DWORD dst_unused:UNUSED_PAD src0_sel:WORD_1
	v_pk_fma_f32 v[22:23], v[14:15], v[22:23], v[8:9] op_sel_hi:[1,0,1]
	buffer_load_dword v8, off, s[28:31], 0 offset:48 ; 4-byte Folded Reload
	v_pk_fma_f32 v[20:21], v[14:15], v[56:57], v[10:11] op_sel_hi:[1,0,1]
	v_pk_fma_f32 v[36:37], v[24:25], v[26:27], v[16:17] op_sel_hi:[1,0,1]
	;; [unrolled: 1-line block ×4, first 2 shown]
	s_waitcnt vmcnt(1)
	v_add_co_u32_e32 v4, vcc, s12, v4
	v_addc_co_u32_e32 v5, vcc, v121, v120, vcc
	global_load_dwordx4 v[4:7], v[4:5], off offset:-8
	s_waitcnt vmcnt(1)
	v_add_co_u32_e32 v8, vcc, s12, v8
	v_addc_co_u32_e32 v9, vcc, v121, v117, vcc
	s_add_u32 s12, s12, s2
	s_addc_u32 s13, s13, s3
	s_add_i32 s4, s4, 64
	s_cmp_ge_i32 s24, s25
	s_waitcnt vmcnt(0)
	v_sub_u32_sdwa v103, v4, v123 dst_sel:DWORD dst_unused:UNUSED_PAD src0_sel:BYTE_0 src1_sel:DWORD
	v_sub_u32_sdwa v104, v5, v122 dst_sel:DWORD dst_unused:UNUSED_PAD src0_sel:BYTE_0 src1_sel:DWORD
	v_sub_u32_sdwa v121, v5, v122 dst_sel:DWORD dst_unused:UNUSED_PAD src0_sel:BYTE_1 src1_sel:DWORD
	v_sub_u32_sdwa v127, v4, v123 dst_sel:DWORD dst_unused:UNUSED_PAD src0_sel:BYTE_1 src1_sel:DWORD
	v_sub_u32_sdwa v92, v5, v122 dst_sel:DWORD dst_unused:UNUSED_PAD src0_sel:BYTE_2 src1_sel:DWORD
	v_sub_u32_sdwa v93, v4, v123 dst_sel:DWORD dst_unused:UNUSED_PAD src0_sel:BYTE_2 src1_sel:DWORD
	v_sub_u32_sdwa v90, v5, v122 dst_sel:DWORD dst_unused:UNUSED_PAD src0_sel:BYTE_3 src1_sel:DWORD
	v_sub_u32_sdwa v91, v4, v123 dst_sel:DWORD dst_unused:UNUSED_PAD src0_sel:BYTE_3 src1_sel:DWORD
	v_sub_u32_sdwa v96, v6, v126 dst_sel:DWORD dst_unused:UNUSED_PAD src0_sel:BYTE_0 src1_sel:DWORD
	v_sub_u32_sdwa v56, v7, v125 dst_sel:DWORD dst_unused:UNUSED_PAD src0_sel:BYTE_0 src1_sel:DWORD
	v_sub_u32_sdwa v94, v7, v125 dst_sel:DWORD dst_unused:UNUSED_PAD src0_sel:BYTE_1 src1_sel:DWORD
	v_sub_u32_sdwa v95, v6, v126 dst_sel:DWORD dst_unused:UNUSED_PAD src0_sel:BYTE_1 src1_sel:DWORD
	v_sub_u32_sdwa v87, v7, v125 dst_sel:DWORD dst_unused:UNUSED_PAD src0_sel:BYTE_2 src1_sel:DWORD
	v_sub_u32_sdwa v89, v6, v126 dst_sel:DWORD dst_unused:UNUSED_PAD src0_sel:BYTE_2 src1_sel:DWORD
	v_sub_u32_sdwa v83, v7, v125 dst_sel:DWORD dst_unused:UNUSED_PAD src0_sel:BYTE_3 src1_sel:DWORD
	v_sub_u32_sdwa v85, v6, v126 dst_sel:DWORD dst_unused:UNUSED_PAD src0_sel:BYTE_3 src1_sel:DWORD
	global_load_dwordx4 v[4:7], v[8:9], off offset:-8
	v_cvt_f32_i32_e32 v56, v56
	v_cvt_f16_f32_e32 v56, v56
	s_waitcnt vmcnt(0)
	v_sub_u32_sdwa v9, v5, v122 dst_sel:DWORD dst_unused:UNUSED_PAD src0_sel:BYTE_0 src1_sel:DWORD
	v_sub_u32_sdwa v10, v5, v122 dst_sel:DWORD dst_unused:UNUSED_PAD src0_sel:BYTE_1 src1_sel:DWORD
	v_sub_u32_sdwa v110, v5, v122 dst_sel:DWORD dst_unused:UNUSED_PAD src0_sel:BYTE_2 src1_sel:DWORD
	v_sub_u32_sdwa v107, v5, v122 dst_sel:DWORD dst_unused:UNUSED_PAD src0_sel:BYTE_3 src1_sel:DWORD
	v_cvt_f32_i32_e32 v5, v9
	v_sub_u32_sdwa v109, v4, v123 dst_sel:DWORD dst_unused:UNUSED_PAD src0_sel:BYTE_2 src1_sel:DWORD
	v_sub_u32_sdwa v106, v4, v123 dst_sel:DWORD dst_unused:UNUSED_PAD src0_sel:BYTE_3 src1_sel:DWORD
	v_sub_u32_sdwa v8, v4, v123 dst_sel:DWORD dst_unused:UNUSED_PAD src0_sel:BYTE_0 src1_sel:DWORD
	v_cvt_f16_f32_e32 v5, v5
	v_sub_u32_sdwa v4, v4, v123 dst_sel:DWORD dst_unused:UNUSED_PAD src0_sel:BYTE_1 src1_sel:DWORD
	v_sub_u32_sdwa v108, v6, v126 dst_sel:DWORD dst_unused:UNUSED_PAD src0_sel:BYTE_2 src1_sel:DWORD
	v_sub_u32_sdwa v122, v6, v126 dst_sel:DWORD dst_unused:UNUSED_PAD src0_sel:BYTE_3 src1_sel:DWORD
	v_sub_u32_sdwa v113, v6, v126 dst_sel:DWORD dst_unused:UNUSED_PAD src0_sel:BYTE_0 src1_sel:DWORD
	v_sub_u32_sdwa v111, v6, v126 dst_sel:DWORD dst_unused:UNUSED_PAD src0_sel:BYTE_1 src1_sel:DWORD
	v_cvt_f32_i32_e32 v6, v8
	v_cvt_f32_f16_e32 v73, v5
	v_cvt_f32_i32_e32 v5, v10
	v_cvt_f32_i32_e32 v4, v4
	v_cvt_f16_f32_e32 v6, v6
	v_sub_u32_sdwa v114, v7, v125 dst_sel:DWORD dst_unused:UNUSED_PAD src0_sel:BYTE_0 src1_sel:DWORD
	v_cvt_f16_f32_e32 v5, v5
	v_cvt_f16_f32_e32 v4, v4
	v_sub_u32_sdwa v112, v7, v125 dst_sel:DWORD dst_unused:UNUSED_PAD src0_sel:BYTE_1 src1_sel:DWORD
	v_sub_u32_sdwa v126, v7, v125 dst_sel:DWORD dst_unused:UNUSED_PAD src0_sel:BYTE_2 src1_sel:DWORD
	v_sub_u32_sdwa v123, v7, v125 dst_sel:DWORD dst_unused:UNUSED_PAD src0_sel:BYTE_3 src1_sel:DWORD
	v_cvt_f32_f16_e32 v72, v6
	v_cvt_f32_f16_e32 v75, v5
	;; [unrolled: 1-line block ×3, first 2 shown]
	ds_read_b128 v[4:7], v124 offset:48
	v_cvt_f32_i32_e32 v112, v112
	v_cvt_f32_i32_e32 v111, v111
	s_waitcnt lgkmcnt(0)
	v_cvt_f32_f16_e32 v86, v4
	v_cvt_f32_f16_sdwa v88, v4 dst_sel:DWORD dst_unused:UNUSED_PAD src0_sel:WORD_1
	v_cvt_f16_f32_e32 v112, v112
	v_cvt_f16_f32_e32 v111, v111
	v_pk_fma_f32 v[8:9], v[72:73], v[86:87], 0 op_sel_hi:[1,0,0]
	v_pk_fma_f32 v[76:77], v[74:75], v[88:89], v[8:9] op_sel_hi:[1,0,1]
	ds_read_b128 v[8:11], v124 offset:304
	s_waitcnt lgkmcnt(0)
	v_cvt_f32_f16_e32 v82, v8
	v_cvt_f32_f16_sdwa v4, v8 dst_sel:DWORD dst_unused:UNUSED_PAD src0_sel:WORD_1
	v_pk_fma_f32 v[12:13], v[72:73], v[82:83], 0 op_sel_hi:[1,0,0]
	v_pk_fma_f32 v[78:79], v[74:75], v[4:5], v[12:13] op_sel_hi:[1,0,1]
	ds_read_b128 v[12:15], v124 offset:560
	s_waitcnt lgkmcnt(0)
	v_cvt_f32_f16_e32 v84, v12
	v_cvt_f32_f16_sdwa v8, v12 dst_sel:DWORD dst_unused:UNUSED_PAD src0_sel:WORD_1
	;; [unrolled: 6-line block ×3, first 2 shown]
	v_pk_fma_f32 v[72:73], v[72:73], v[12:13], 0 op_sel_hi:[1,0,0]
	v_pk_fma_f32 v[72:73], v[74:75], v[16:17], v[72:73] op_sel_hi:[1,0,1]
	v_cvt_f32_i32_e32 v74, v114
	v_cvt_f32_i32_e32 v75, v113
	v_cvt_f16_f32_e32 v74, v74
	v_cvt_f16_f32_e32 v113, v75
	v_cvt_f32_f16_e32 v75, v74
	v_cvt_f32_f16_e32 v74, v113
	;; [unrolled: 1-line block ×4, first 2 shown]
	v_pk_fma_f32 v[114:115], v[74:75], v[82:83], 0 op_sel_hi:[1,0,0]
	v_pk_fma_f32 v[118:119], v[74:75], v[84:85], 0 op_sel_hi:[1,0,0]
	;; [unrolled: 1-line block ×4, first 2 shown]
	v_cvt_f32_i32_e32 v4, v110
	v_cvt_f32_i32_e32 v8, v109
	;; [unrolled: 1-line block ×4, first 2 shown]
	v_cvt_f16_f32_e32 v4, v4
	v_cvt_f16_f32_e32 v8, v8
	;; [unrolled: 1-line block ×4, first 2 shown]
	v_pk_fma_f32 v[124:125], v[74:75], v[86:87], 0 op_sel_hi:[1,0,0]
	v_pk_fma_f32 v[74:75], v[74:75], v[12:13], 0 op_sel_hi:[1,0,0]
	;; [unrolled: 1-line block ×3, first 2 shown]
	v_cvt_f32_f16_e32 v111, v4
	v_cvt_f32_f16_e32 v110, v8
	v_cvt_f32_f16_e32 v4, v5
	v_cvt_f32_f16_e32 v8, v9
	v_cvt_f32_f16_e32 v12, v13
	v_cvt_f32_f16_e32 v16, v17
	v_cvt_f32_f16_e32 v108, v82
	v_cvt_f32_f16_e32 v109, v84
	v_pk_fma_f32 v[124:125], v[112:113], v[88:89], v[124:125] op_sel_hi:[1,0,1]
	v_pk_fma_f32 v[76:77], v[110:111], v[4:5], v[76:77] op_sel_hi:[1,0,1]
	;; [unrolled: 1-line block ×7, first 2 shown]
	v_cvt_f32_i32_e32 v4, v107
	v_cvt_f32_i32_e32 v8, v106
	v_pk_fma_f32 v[114:115], v[108:109], v[12:13], v[118:119] op_sel_hi:[1,0,1]
	v_pk_fma_f32 v[74:75], v[108:109], v[16:17], v[74:75] op_sel_hi:[1,0,1]
	v_cvt_f16_f32_e32 v4, v4
	v_cvt_f16_f32_e32 v8, v8
	v_cvt_f32_f16_sdwa v12, v13 dst_sel:DWORD dst_unused:UNUSED_PAD src0_sel:WORD_1
	v_cvt_f32_f16_sdwa v16, v17 dst_sel:DWORD dst_unused:UNUSED_PAD src0_sel:WORD_1
	v_cvt_f32_f16_e32 v107, v4
	v_cvt_f32_f16_e32 v106, v8
	v_cvt_f32_f16_sdwa v4, v5 dst_sel:DWORD dst_unused:UNUSED_PAD src0_sel:WORD_1
	v_cvt_f32_f16_sdwa v8, v9 dst_sel:DWORD dst_unused:UNUSED_PAD src0_sel:WORD_1
	v_cvt_f32_f16_e32 v84, v10
	v_pk_fma_f32 v[80:81], v[106:107], v[12:13], v[80:81] op_sel_hi:[1,0,1]
	v_pk_fma_f32 v[76:77], v[106:107], v[4:5], v[76:77] op_sel_hi:[1,0,1]
	;; [unrolled: 1-line block ×3, first 2 shown]
	v_cvt_f32_i32_e32 v5, v123
	v_cvt_f32_i32_e32 v9, v122
	v_pk_fma_f32 v[72:73], v[106:107], v[16:17], v[72:73] op_sel_hi:[1,0,1]
	v_cvt_f32_f16_e32 v86, v14
	v_cvt_f16_f32_e32 v5, v5
	v_cvt_f16_f32_e32 v9, v9
	v_cvt_f32_f16_e32 v88, v18
	v_cvt_f32_f16_sdwa v10, v10 dst_sel:DWORD dst_unused:UNUSED_PAD src0_sel:WORD_1
	v_cvt_f32_f16_e32 v107, v5
	v_cvt_f32_f16_e32 v106, v9
	v_cvt_f32_f16_sdwa v14, v14 dst_sel:DWORD dst_unused:UNUSED_PAD src0_sel:WORD_1
	v_cvt_f32_f16_sdwa v18, v18 dst_sel:DWORD dst_unused:UNUSED_PAD src0_sel:WORD_1
	v_pk_fma_f32 v[16:17], v[106:107], v[16:17], v[74:75] op_sel_hi:[1,0,1]
	v_cvt_f32_i32_e32 v74, v104
	v_cvt_f32_i32_e32 v75, v103
	v_pk_fma_f32 v[4:5], v[106:107], v[4:5], v[110:111] op_sel_hi:[1,0,1]
	v_pk_fma_f32 v[8:9], v[106:107], v[8:9], v[112:113] op_sel_hi:[1,0,1]
	v_cvt_f16_f32_e32 v74, v74
	v_cvt_f16_f32_e32 v82, v75
	v_pk_fma_f32 v[12:13], v[106:107], v[12:13], v[114:115] op_sel_hi:[1,0,1]
	v_cvt_f32_f16_e32 v75, v74
	v_cvt_f32_f16_e32 v74, v82
	;; [unrolled: 1-line block ×3, first 2 shown]
	v_cvt_f32_f16_sdwa v6, v6 dst_sel:DWORD dst_unused:UNUSED_PAD src0_sel:WORD_1
	v_pk_fma_f32 v[78:79], v[74:75], v[84:85], v[78:79] op_sel_hi:[1,0,1]
	v_pk_fma_f32 v[76:77], v[74:75], v[82:83], v[76:77] op_sel_hi:[1,0,1]
	;; [unrolled: 1-line block ×4, first 2 shown]
	v_cvt_f32_i32_e32 v74, v96
	v_cvt_f32_f16_e32 v75, v56
	v_cvt_f32_i32_e32 v56, v121
	v_cvt_f16_f32_e32 v74, v74
	v_cvt_f16_f32_e32 v56, v56
	v_cvt_f32_f16_e32 v74, v74
	v_pk_fma_f32 v[4:5], v[74:75], v[82:83], v[4:5] op_sel_hi:[1,0,1]
	v_pk_fma_f32 v[8:9], v[74:75], v[84:85], v[8:9] op_sel_hi:[1,0,1]
	v_pk_fma_f32 v[12:13], v[74:75], v[86:87], v[12:13] op_sel_hi:[1,0,1]
	v_pk_fma_f32 v[16:17], v[74:75], v[88:89], v[16:17] op_sel_hi:[1,0,1]
	v_cvt_f32_i32_e32 v74, v127
	v_cvt_f32_f16_e32 v75, v56
	v_cvt_f32_i32_e32 v56, v94
	v_cvt_f16_f32_e32 v74, v74
	v_cvt_f16_f32_e32 v56, v56
	v_cvt_f32_f16_e32 v74, v74
	v_pk_fma_f32 v[76:77], v[74:75], v[6:7], v[76:77] op_sel_hi:[1,0,1]
	v_pk_fma_f32 v[78:79], v[74:75], v[10:11], v[78:79] op_sel_hi:[1,0,1]
	;; [unrolled: 1-line block ×4, first 2 shown]
	v_cvt_f32_i32_e32 v74, v95
	v_cvt_f32_f16_e32 v75, v56
	v_cvt_f32_f16_sdwa v56, v11 dst_sel:DWORD dst_unused:UNUSED_PAD src0_sel:WORD_1
	v_cvt_f16_f32_e32 v74, v74
	v_cvt_f32_f16_e32 v74, v74
	v_pk_fma_f32 v[94:95], v[74:75], v[6:7], v[4:5] op_sel_hi:[1,0,1]
	v_pk_fma_f32 v[106:107], v[74:75], v[10:11], v[8:9] op_sel_hi:[1,0,1]
	;; [unrolled: 1-line block ×4, first 2 shown]
	v_cvt_f32_f16_e32 v14, v7
	v_cvt_f32_f16_sdwa v16, v7 dst_sel:DWORD dst_unused:UNUSED_PAD src0_sel:WORD_1
	v_cvt_f32_i32_e32 v7, v92
	v_cvt_f32_i32_e32 v9, v93
	v_cvt_f32_f16_e32 v18, v11
	v_cvt_f32_f16_e32 v74, v15
	v_cvt_f16_f32_e32 v7, v7
	v_cvt_f16_f32_e32 v9, v9
	v_cvt_f32_f16_e32 v8, v19
	v_cvt_f32_f16_sdwa v6, v19 dst_sel:DWORD dst_unused:UNUSED_PAD src0_sel:WORD_1
	v_cvt_f32_f16_e32 v13, v7
	v_cvt_f32_f16_e32 v12, v9
	v_cvt_f32_i32_e32 v7, v90
	v_cvt_f32_f16_sdwa v10, v15 dst_sel:DWORD dst_unused:UNUSED_PAD src0_sel:WORD_1
	v_pk_fma_f32 v[76:77], v[12:13], v[14:15], v[76:77] op_sel_hi:[1,0,1]
	v_pk_fma_f32 v[78:79], v[12:13], v[18:19], v[78:79] op_sel_hi:[1,0,1]
	;; [unrolled: 1-line block ×4, first 2 shown]
	v_cvt_f32_i32_e32 v9, v91
	v_cvt_f16_f32_e32 v7, v7
	v_cvt_f16_f32_e32 v9, v9
	v_cvt_f32_f16_e32 v73, v7
	v_cvt_f32_f16_e32 v72, v9
	v_cvt_f32_i32_e32 v9, v89
	v_pk_fma_f32 v[12:13], v[72:73], v[6:7], v[12:13] op_sel_hi:[1,0,1]
	v_cvt_f32_i32_e32 v7, v87
	v_pk_fma_f32 v[76:77], v[72:73], v[16:17], v[76:77] op_sel_hi:[1,0,1]
	v_pk_fma_f32 v[78:79], v[72:73], v[56:57], v[78:79] op_sel_hi:[1,0,1]
	v_pk_fma_f32 v[80:81], v[72:73], v[10:11], v[80:81] op_sel_hi:[1,0,1]
	v_cvt_f32_f16_sdwa v73, v58 dst_sel:DWORD dst_unused:UNUSED_PAD src0_sel:WORD_1
	v_cvt_f32_f16_e32 v72, v58
	v_cvt_f16_f32_e32 v7, v7
	v_cvt_f16_f32_e32 v9, v9
	v_pk_mul_f32 v[50:51], v[50:51], v[72:73]
	v_pk_mul_f32 v[52:53], v[52:53], v[72:73]
	;; [unrolled: 1-line block ×16, first 2 shown]
	v_cvt_f32_f16_e32 v13, v7
	v_cvt_f32_f16_e32 v12, v9
	v_cvt_f32_i32_e32 v7, v83
	v_cvt_f32_i32_e32 v9, v85
	v_cvt_f16_f32_e32 v11, v53
	v_pk_fma_f32 v[28:29], v[12:13], v[14:15], v[94:95] op_sel_hi:[1,0,1]
	v_cvt_f16_f32_e32 v7, v7
	v_cvt_f16_f32_e32 v9, v9
	;; [unrolled: 1-line block ×4, first 2 shown]
	v_cvt_f32_f16_e32 v15, v7
	v_cvt_f32_f16_e32 v14, v9
	v_cvt_f16_f32_e32 v7, v51
	v_cvt_f16_f32_e32 v9, v50
	;; [unrolled: 1-line block ×5, first 2 shown]
	v_pack_b32_f16 v7, v9, v7
	v_pack_b32_f16 v9, v50, v11
	v_cvt_f16_f32_e32 v11, v69
	v_cvt_f16_f32_e32 v50, v68
	;; [unrolled: 1-line block ×4, first 2 shown]
	v_pk_add_f16 v7, v116, v7
	v_pack_b32_f16 v11, v50, v11
	v_pk_add_f16 v9, v98, v9
	v_pk_add_f16 v7, v7, v11
	v_pack_b32_f16 v11, v52, v51
	v_pk_add_f16 v9, v9, v11
	v_pack_b32_f16 v11, v30, v31
	v_cvt_f16_f32_e32 v30, v49
	v_cvt_f16_f32_e32 v31, v48
	v_pk_add_f16 v7, v7, v11
	v_pack_b32_f16 v11, v36, v37
	v_cvt_f16_f32_e32 v36, v67
	v_cvt_f16_f32_e32 v37, v66
	;; [unrolled: 4-line block ×3, first 2 shown]
	v_pack_b32_f16 v30, v37, v36
	v_cvt_f16_f32_e32 v35, v47
	v_cvt_f16_f32_e32 v36, v46
	v_pk_add_f16 v11, v102, v11
	v_pk_add_f16 v11, v11, v30
	v_pack_b32_f16 v30, v34, v31
	v_cvt_f16_f32_e32 v31, v65
	v_cvt_f16_f32_e32 v34, v64
	v_pk_add_f16 v11, v11, v30
	v_pack_b32_f16 v30, v36, v35
	v_cvt_f16_f32_e32 v35, v91
	v_cvt_f16_f32_e32 v36, v90
	v_pk_add_f16 v30, v99, v30
	v_pack_b32_f16 v31, v34, v31
	v_pk_add_f16 v30, v30, v31
	v_pack_b32_f16 v31, v36, v35
	v_cvt_f16_f32_e32 v34, v77
	v_cvt_f16_f32_e32 v35, v76
	;; [unrolled: 1-line block ×4, first 2 shown]
	v_pk_add_f16 v46, v30, v31
	v_pack_b32_f16 v30, v35, v34
	v_pk_add_f16 v116, v7, v30
	v_cvt_f16_f32_e32 v34, v81
	v_cvt_f16_f32_e32 v35, v80
	v_cvt_f32_f16_sdwa v31, v59 dst_sel:DWORD dst_unused:UNUSED_PAD src0_sel:WORD_1
	v_cvt_f32_f16_e32 v30, v59
	v_pack_b32_f16 v7, v37, v36
	v_cvt_f16_f32_e32 v36, v73
	v_cvt_f16_f32_e32 v37, v72
	v_pk_add_f16 v102, v11, v7
	v_pack_b32_f16 v7, v35, v34
	v_pk_mul_f32 v[34:35], v[44:45], v[30:31]
	v_pk_add_f16 v99, v46, v7
	v_pack_b32_f16 v7, v37, v36
	v_cvt_f16_f32_e32 v11, v35
	v_cvt_f16_f32_e32 v36, v34
	v_pk_mul_f32 v[34:35], v[62:63], v[30:31]
	v_cvt_f16_f32_e32 v35, v35
	v_cvt_f16_f32_e32 v34, v34
	v_pk_mul_f32 v[26:27], v[26:27], v[30:31]
	v_pk_add_f16 v98, v9, v7
	v_pack_b32_f16 v7, v36, v11
	v_pack_b32_f16 v9, v34, v35
	v_cvt_f16_f32_e32 v11, v27
	v_cvt_f16_f32_e32 v34, v26
	v_pk_mul_f32 v[26:27], v[42:43], v[30:31]
	v_cvt_f16_f32_e32 v27, v27
	v_cvt_f16_f32_e32 v26, v26
	v_pk_add_f16 v7, v97, v7
	v_pk_add_f16 v7, v7, v9
	v_pack_b32_f16 v9, v34, v11
	v_pk_add_f16 v7, v7, v9
	v_pack_b32_f16 v9, v26, v27
	v_pk_mul_f32 v[26:27], v[60:61], v[30:31]
	v_cvt_f16_f32_e32 v11, v27
	v_cvt_f16_f32_e32 v26, v26
	v_pk_mul_f32 v[24:25], v[24:25], v[30:31]
	v_cvt_f16_f32_e32 v25, v25
	v_cvt_f16_f32_e32 v24, v24
	v_pk_add_f16 v9, v105, v9
	v_pack_b32_f16 v11, v26, v11
	v_pk_add_f16 v9, v9, v11
	v_pack_b32_f16 v11, v24, v25
	v_pk_mul_f32 v[24:25], v[40:41], v[30:31]
	v_cvt_f16_f32_e32 v26, v25
	v_cvt_f16_f32_e32 v27, v24
	v_pk_mul_f32 v[24:25], v[54:55], v[30:31]
	v_cvt_f16_f32_e32 v25, v25
	v_cvt_f16_f32_e32 v24, v24
	v_pk_mul_f32 v[22:23], v[22:23], v[30:31]
	v_pk_add_f16 v9, v9, v11
	v_pack_b32_f16 v11, v27, v26
	v_pack_b32_f16 v24, v24, v25
	v_cvt_f16_f32_e32 v25, v23
	v_cvt_f16_f32_e32 v26, v22
	v_pk_mul_f32 v[22:23], v[38:39], v[30:31]
	v_cvt_f16_f32_e32 v23, v23
	v_cvt_f16_f32_e32 v22, v22
	v_pk_add_f16 v11, v101, v11
	v_pk_add_f16 v11, v11, v24
	v_pack_b32_f16 v24, v26, v25
	v_pk_add_f16 v24, v11, v24
	v_pack_b32_f16 v11, v22, v23
	v_pk_mul_f32 v[22:23], v[32:33], v[30:31]
	v_cvt_f16_f32_e32 v23, v23
	v_cvt_f16_f32_e32 v22, v22
	v_pk_mul_f32 v[20:21], v[20:21], v[30:31]
	v_cvt_f16_f32_e32 v21, v21
	v_cvt_f16_f32_e32 v20, v20
	v_pk_fma_f32 v[28:29], v[14:15], v[16:17], v[28:29] op_sel_hi:[1,0,1]
	v_pk_fma_f32 v[16:17], v[12:13], v[18:19], v[106:107] op_sel_hi:[1,0,1]
	v_pk_add_f16 v11, v57, v11
	v_pack_b32_f16 v22, v22, v23
	v_pk_fma_f32 v[18:19], v[14:15], v[56:57], v[16:17] op_sel_hi:[1,0,1]
	v_pk_add_f16 v11, v11, v22
	v_pack_b32_f16 v22, v20, v21
	v_pk_mul_f32 v[20:21], v[28:29], v[30:31]
	v_cvt_f16_f32_e32 v21, v21
	v_cvt_f16_f32_e32 v20, v20
	v_pk_mul_f32 v[18:19], v[18:19], v[30:31]
	v_cvt_f16_f32_e32 v19, v19
	v_cvt_f16_f32_e32 v18, v18
	v_pk_add_f16 v22, v11, v22
	v_pack_b32_f16 v11, v20, v21
	v_pk_add_f16 v105, v9, v11
	v_pack_b32_f16 v9, v18, v19
	v_pk_fma_f32 v[16:17], v[12:13], v[74:75], v[108:109] op_sel_hi:[1,0,1]
	v_pk_fma_f32 v[4:5], v[12:13], v[8:9], v[4:5] op_sel_hi:[1,0,1]
	;; [unrolled: 1-line block ×4, first 2 shown]
	v_pk_mul_f32 v[10:11], v[10:11], v[30:31]
	v_pk_mul_f32 v[4:5], v[4:5], v[30:31]
	v_cvt_f16_f32_e32 v11, v11
	v_cvt_f16_f32_e32 v10, v10
	;; [unrolled: 1-line block ×4, first 2 shown]
	v_pk_add_f16 v101, v24, v9
	v_pack_b32_f16 v6, v10, v11
	v_pk_add_f16 v57, v22, v6
	v_pack_b32_f16 v4, v4, v5
	v_pk_add_f16 v97, v7, v4
	s_cbranch_scc1 .LBB30_16
.LBB30_14:                              ; =>This Inner Loop Header: Depth=1
	s_cmp_lg_u32 s24, s8
	s_cbranch_scc1 .LBB30_13
; %bb.15:                               ;   in Loop: Header=BB30_14 Depth=1
	buffer_load_dword v0, off, s[28:31], 0 offset:64 ; 4-byte Folded Reload
	s_add_i32 s6, s6, 1
	s_mul_i32 s0, s6, s20
	s_ashr_i32 s1, s0, 31
	s_lshr_b32 s1, s1, 30
	s_add_i32 s1, s0, s1
	s_ashr_i32 s1, s1, 2
	v_mov_b32_e32 v2, s15
	s_add_i32 s8, s8, s5
	s_waitcnt vmcnt(0)
	v_add_u32_e32 v0, s1, v0
	v_ashrrev_i32_e32 v1, 31, v0
	v_lshlrev_b64 v[0:1], 2, v[0:1]
	v_add_co_u32_e32 v0, vcc, s14, v0
	v_addc_co_u32_e32 v1, vcc, v2, v1, vcc
	global_load_dword v3, v[0:1], off
	s_nop 0
	buffer_load_dword v0, off, s[28:31], 0 offset:56 ; 4-byte Folded Reload
	buffer_load_dword v1, off, s[28:31], 0 offset:60 ; 4-byte Folded Reload
	v_mov_b32_e32 v2, s17
	s_waitcnt vmcnt(1)
	v_add_u32_e32 v0, s0, v0
	s_waitcnt vmcnt(0)
	v_ashrrev_i32_e32 v1, 31, v0
	v_lshlrev_b64 v[0:1], 1, v[0:1]
	v_add_co_u32_e32 v0, vcc, s16, v0
	v_addc_co_u32_e32 v1, vcc, v2, v1, vcc
	global_load_dwordx2 v[58:59], v[0:1], off
	v_and_b32_e32 v0, 0xff, v3
	v_bfe_u32 v1, v3, 8, 8
	v_bfe_u32 v2, v3, 16, 8
	v_lshrrev_b32_e32 v3, 24, v3
	s_branch .LBB30_13
.LBB30_16:
	buffer_load_dword v0, off, s[28:31], 0 offset:56 ; 4-byte Folded Reload
	buffer_load_dword v1, off, s[28:31], 0 offset:60 ; 4-byte Folded Reload
	s_mul_i32 s7, s7, s20
	s_mov_b64 s[0:1], 0
	s_waitcnt vmcnt(1)
	v_add_u32_e32 v0, s7, v0
	s_waitcnt vmcnt(0)
	v_ashrrev_i32_e32 v1, 31, v0
	v_lshlrev_b64 v[2:3], 1, v[0:1]
	v_mov_b32_e32 v1, s19
	v_add_co_u32_e32 v2, vcc, s18, v2
	v_addc_co_u32_e32 v3, vcc, v1, v3, vcc
	global_load_dword v5, v[2:3], off
.LBB30_17:                              ; =>This Inner Loop Header: Depth=1
	s_waitcnt vmcnt(0)
	v_pk_add_f16 v4, v116, v5
	global_atomic_cmpswap v1, v[2:3], v[4:5], off glc
	s_waitcnt vmcnt(0)
	v_cmp_eq_u32_e32 vcc, v5, v1
	s_or_b64 s[0:1], vcc, s[0:1]
	v_mov_b32_e32 v5, v1
	s_andn2_b64 exec, exec, s[0:1]
	s_cbranch_execnz .LBB30_17
; %bb.18:
	s_or_b64 exec, exec, s[0:1]
	global_load_dword v5, v[2:3], off offset:4
	s_mov_b64 s[0:1], 0
.LBB30_19:                              ; =>This Inner Loop Header: Depth=1
	s_waitcnt vmcnt(0)
	v_pk_add_f16 v4, v105, v5
	global_atomic_cmpswap v1, v[2:3], v[4:5], off offset:4 glc
	s_waitcnt vmcnt(0)
	v_cmp_eq_u32_e32 vcc, v5, v1
	s_or_b64 s[0:1], vcc, s[0:1]
	v_mov_b32_e32 v5, v1
	s_andn2_b64 exec, exec, s[0:1]
	s_cbranch_execnz .LBB30_19
; %bb.20:
	s_or_b64 exec, exec, s[0:1]
	v_add_u32_e32 v0, s20, v0
	v_ashrrev_i32_e32 v1, 31, v0
	v_lshlrev_b64 v[2:3], 1, v[0:1]
	v_mov_b32_e32 v1, s19
	v_add_co_u32_e32 v2, vcc, s18, v2
	v_addc_co_u32_e32 v3, vcc, v1, v3, vcc
	global_load_dword v5, v[2:3], off
	s_mov_b64 s[0:1], 0
.LBB30_21:                              ; =>This Inner Loop Header: Depth=1
	s_waitcnt vmcnt(0)
	v_pk_add_f16 v4, v102, v5
	global_atomic_cmpswap v1, v[2:3], v[4:5], off glc
	s_waitcnt vmcnt(0)
	v_cmp_eq_u32_e32 vcc, v5, v1
	s_or_b64 s[0:1], vcc, s[0:1]
	v_mov_b32_e32 v5, v1
	s_andn2_b64 exec, exec, s[0:1]
	s_cbranch_execnz .LBB30_21
; %bb.22:
	s_or_b64 exec, exec, s[0:1]
	global_load_dword v5, v[2:3], off offset:4
	s_mov_b64 s[0:1], 0
.LBB30_23:                              ; =>This Inner Loop Header: Depth=1
	s_waitcnt vmcnt(0)
	v_pk_add_f16 v4, v101, v5
	global_atomic_cmpswap v1, v[2:3], v[4:5], off offset:4 glc
	s_waitcnt vmcnt(0)
	v_cmp_eq_u32_e32 vcc, v5, v1
	s_or_b64 s[0:1], vcc, s[0:1]
	v_mov_b32_e32 v5, v1
	s_andn2_b64 exec, exec, s[0:1]
	s_cbranch_execnz .LBB30_23
; %bb.24:
	s_or_b64 exec, exec, s[0:1]
	v_add_u32_e32 v0, s20, v0
	v_ashrrev_i32_e32 v1, 31, v0
	v_lshlrev_b64 v[2:3], 1, v[0:1]
	v_mov_b32_e32 v1, s19
	v_add_co_u32_e32 v2, vcc, s18, v2
	v_addc_co_u32_e32 v3, vcc, v1, v3, vcc
	global_load_dword v5, v[2:3], off
	s_mov_b64 s[0:1], 0
	;; [unrolled: 34-line block ×3, first 2 shown]
.LBB30_29:                              ; =>This Inner Loop Header: Depth=1
	s_waitcnt vmcnt(0)
	v_pk_add_f16 v2, v98, v3
	global_atomic_cmpswap v2, v[0:1], v[2:3], off glc
	s_waitcnt vmcnt(0)
	v_cmp_eq_u32_e32 vcc, v3, v2
	s_or_b64 s[0:1], vcc, s[0:1]
	v_mov_b32_e32 v3, v2
	s_andn2_b64 exec, exec, s[0:1]
	s_cbranch_execnz .LBB30_29
; %bb.30:
	s_or_b64 exec, exec, s[0:1]
	global_load_dword v3, v[0:1], off offset:4
	s_mov_b64 s[0:1], 0
.LBB30_31:                              ; =>This Inner Loop Header: Depth=1
	s_waitcnt vmcnt(0)
	v_pk_add_f16 v2, v97, v3
	global_atomic_cmpswap v2, v[0:1], v[2:3], off offset:4 glc
	s_waitcnt vmcnt(0)
	v_cmp_eq_u32_e32 vcc, v3, v2
	s_or_b64 s[0:1], vcc, s[0:1]
	v_mov_b32_e32 v3, v2
	s_andn2_b64 exec, exec, s[0:1]
	s_cbranch_execnz .LBB30_31
.LBB30_32:
	s_endpgm
	.section	.rodata,"a",@progbits
	.p2align	6, 0x0
	.amdhsa_kernel _ZN4vllm4gptq33gemm_half_q_half_gptq_8bit_kernelILb1ELi4EEEvPK6__halfPKjS6_S4_PS2_iiiibPKi
		.amdhsa_group_segment_fixed_size 1024
		.amdhsa_private_segment_fixed_size 72
		.amdhsa_kernarg_size 72
		.amdhsa_user_sgpr_count 6
		.amdhsa_user_sgpr_private_segment_buffer 1
		.amdhsa_user_sgpr_dispatch_ptr 0
		.amdhsa_user_sgpr_queue_ptr 0
		.amdhsa_user_sgpr_kernarg_segment_ptr 1
		.amdhsa_user_sgpr_dispatch_id 0
		.amdhsa_user_sgpr_flat_scratch_init 0
		.amdhsa_user_sgpr_kernarg_preload_length 0
		.amdhsa_user_sgpr_kernarg_preload_offset 0
		.amdhsa_user_sgpr_private_segment_size 0
		.amdhsa_uses_dynamic_stack 0
		.amdhsa_system_sgpr_private_segment_wavefront_offset 1
		.amdhsa_system_sgpr_workgroup_id_x 1
		.amdhsa_system_sgpr_workgroup_id_y 1
		.amdhsa_system_sgpr_workgroup_id_z 1
		.amdhsa_system_sgpr_workgroup_info 0
		.amdhsa_system_vgpr_workitem_id 0
		.amdhsa_next_free_vgpr 128
		.amdhsa_next_free_sgpr 32
		.amdhsa_accum_offset 128
		.amdhsa_reserve_vcc 1
		.amdhsa_reserve_flat_scratch 0
		.amdhsa_float_round_mode_32 0
		.amdhsa_float_round_mode_16_64 0
		.amdhsa_float_denorm_mode_32 3
		.amdhsa_float_denorm_mode_16_64 3
		.amdhsa_dx10_clamp 1
		.amdhsa_ieee_mode 1
		.amdhsa_fp16_overflow 0
		.amdhsa_tg_split 0
		.amdhsa_exception_fp_ieee_invalid_op 0
		.amdhsa_exception_fp_denorm_src 0
		.amdhsa_exception_fp_ieee_div_zero 0
		.amdhsa_exception_fp_ieee_overflow 0
		.amdhsa_exception_fp_ieee_underflow 0
		.amdhsa_exception_fp_ieee_inexact 0
		.amdhsa_exception_int_div_zero 0
	.end_amdhsa_kernel
	.section	.text._ZN4vllm4gptq33gemm_half_q_half_gptq_8bit_kernelILb1ELi4EEEvPK6__halfPKjS6_S4_PS2_iiiibPKi,"axG",@progbits,_ZN4vllm4gptq33gemm_half_q_half_gptq_8bit_kernelILb1ELi4EEEvPK6__halfPKjS6_S4_PS2_iiiibPKi,comdat
.Lfunc_end30:
	.size	_ZN4vllm4gptq33gemm_half_q_half_gptq_8bit_kernelILb1ELi4EEEvPK6__halfPKjS6_S4_PS2_iiiibPKi, .Lfunc_end30-_ZN4vllm4gptq33gemm_half_q_half_gptq_8bit_kernelILb1ELi4EEEvPK6__halfPKjS6_S4_PS2_iiiibPKi
                                        ; -- End function
	.section	.AMDGPU.csdata,"",@progbits
; Kernel info:
; codeLenInByte = 9176
; NumSgprs: 36
; NumVgprs: 128
; NumAgprs: 0
; TotalNumVgprs: 128
; ScratchSize: 72
; MemoryBound: 0
; FloatMode: 240
; IeeeMode: 1
; LDSByteSize: 1024 bytes/workgroup (compile time only)
; SGPRBlocks: 4
; VGPRBlocks: 15
; NumSGPRsForWavesPerEU: 36
; NumVGPRsForWavesPerEU: 128
; AccumOffset: 128
; Occupancy: 4
; WaveLimiterHint : 0
; COMPUTE_PGM_RSRC2:SCRATCH_EN: 1
; COMPUTE_PGM_RSRC2:USER_SGPR: 6
; COMPUTE_PGM_RSRC2:TRAP_HANDLER: 0
; COMPUTE_PGM_RSRC2:TGID_X_EN: 1
; COMPUTE_PGM_RSRC2:TGID_Y_EN: 1
; COMPUTE_PGM_RSRC2:TGID_Z_EN: 1
; COMPUTE_PGM_RSRC2:TIDIG_COMP_CNT: 0
; COMPUTE_PGM_RSRC3_GFX90A:ACCUM_OFFSET: 31
; COMPUTE_PGM_RSRC3_GFX90A:TG_SPLIT: 0
	.section	.text._ZN4vllm4gptq33gemm_half_q_half_gptq_2bit_kernelILb1ELi5EEEvPK6__halfPKjS6_S4_PS2_iiiibPKi,"axG",@progbits,_ZN4vllm4gptq33gemm_half_q_half_gptq_2bit_kernelILb1ELi5EEEvPK6__halfPKjS6_S4_PS2_iiiibPKi,comdat
	.protected	_ZN4vllm4gptq33gemm_half_q_half_gptq_2bit_kernelILb1ELi5EEEvPK6__halfPKjS6_S4_PS2_iiiibPKi ; -- Begin function _ZN4vllm4gptq33gemm_half_q_half_gptq_2bit_kernelILb1ELi5EEEvPK6__halfPKjS6_S4_PS2_iiiibPKi
	.globl	_ZN4vllm4gptq33gemm_half_q_half_gptq_2bit_kernelILb1ELi5EEEvPK6__halfPKjS6_S4_PS2_iiiibPKi
	.p2align	8
	.type	_ZN4vllm4gptq33gemm_half_q_half_gptq_2bit_kernelILb1ELi5EEEvPK6__halfPKjS6_S4_PS2_iiiibPKi,@function
_ZN4vllm4gptq33gemm_half_q_half_gptq_2bit_kernelILb1ELi5EEEvPK6__halfPKjS6_S4_PS2_iiiibPKi: ; @_ZN4vllm4gptq33gemm_half_q_half_gptq_2bit_kernelILb1ELi5EEEvPK6__halfPKjS6_S4_PS2_iiiibPKi
; %bb.0:
	s_load_dwordx8 s[12:19], s[4:5], 0x8
	s_load_dwordx4 s[20:23], s[4:5], 0x2c
	s_lshl_b32 s24, s8, 7
	s_add_i32 s0, s24, 0x80
	v_cvt_f64_u32_e32 v[2:3], s0
	s_mul_i32 s7, s7, 5
	s_waitcnt lgkmcnt(0)
	v_cvt_f64_i32_e32 v[4:5], s21
	v_min_f64 v[2:3], v[2:3], v[4:5]
	v_cvt_i32_f64_e32 v1, v[2:3]
	v_add_u32_e32 v2, s24, v0
	v_readfirstlane_b32 s25, v1
	v_cmp_lt_u32_e32 vcc, v2, v1
	s_and_saveexec_b64 s[2:3], vcc
	s_cbranch_execz .LBB31_12
; %bb.1:
	s_load_dwordx2 s[0:1], s[4:5], 0x40
	s_load_dwordx2 s[8:9], s[4:5], 0x0
	v_mov_b32_e32 v3, 0
	v_lshlrev_b64 v[4:5], 2, v[2:3]
	v_pk_mov_b32 v[6:7], v[2:3], v[2:3] op_sel:[0,1]
	s_waitcnt lgkmcnt(0)
	s_cmp_lg_u64 s[0:1], 0
	v_mov_b32_e32 v1, s1
	v_add_co_u32_e32 v4, vcc, s0, v4
	s_cselect_b64 s[4:5], -1, 0
	s_cmp_eq_u64 s[0:1], 0
	v_addc_co_u32_e32 v5, vcc, v1, v5, vcc
	s_cbranch_scc1 .LBB31_3
; %bb.2:
	global_load_dword v6, v[4:5], off
	s_waitcnt vmcnt(0)
	v_ashrrev_i32_e32 v7, 31, v6
.LBB31_3:
	s_mul_i32 s10, s7, s21
	s_ashr_i32 s11, s10, 31
	s_lshl_b64 s[0:1], s[10:11], 1
	s_add_u32 s0, s8, s0
	s_addc_u32 s1, s9, s1
	v_lshlrev_b64 v[6:7], 1, v[6:7]
	v_mov_b32_e32 v1, s1
	v_add_co_u32_e32 v6, vcc, s0, v6
	v_addc_co_u32_e32 v7, vcc, v1, v7, vcc
	global_load_ushort v6, v[6:7], off
	v_lshlrev_b32_e32 v1, 1, v0
	v_cndmask_b32_e64 v7, 0, 1, s[4:5]
	v_cmp_ne_u32_e64 s[0:1], 1, v7
	s_andn2_b64 vcc, exec, s[4:5]
	s_waitcnt vmcnt(0)
	ds_write_b16 v1, v6
	v_pk_mov_b32 v[6:7], v[2:3], v[2:3] op_sel:[0,1]
	s_cbranch_vccnz .LBB31_5
; %bb.4:
	global_load_dword v6, v[4:5], off
	s_waitcnt vmcnt(0)
	v_ashrrev_i32_e32 v7, 31, v6
.LBB31_5:
	s_add_i32 s4, s10, s21
	s_ashr_i32 s5, s4, 31
	s_lshl_b64 s[10:11], s[4:5], 1
	s_add_u32 s5, s8, s10
	s_addc_u32 s10, s9, s11
	v_lshlrev_b64 v[6:7], 1, v[6:7]
	v_mov_b32_e32 v8, s10
	v_add_co_u32_e32 v6, vcc, s5, v6
	v_addc_co_u32_e32 v7, vcc, v8, v7, vcc
	global_load_ushort v6, v[6:7], off
	s_and_b64 vcc, exec, s[0:1]
	s_waitcnt vmcnt(0)
	ds_write_b16 v1, v6 offset:256
	v_pk_mov_b32 v[6:7], v[2:3], v[2:3] op_sel:[0,1]
	s_cbranch_vccnz .LBB31_7
; %bb.6:
	global_load_dword v6, v[4:5], off
	s_waitcnt vmcnt(0)
	v_ashrrev_i32_e32 v7, 31, v6
.LBB31_7:
	s_add_i32 s4, s4, s21
	s_ashr_i32 s5, s4, 31
	s_lshl_b64 s[10:11], s[4:5], 1
	s_add_u32 s5, s8, s10
	s_addc_u32 s10, s9, s11
	v_lshlrev_b64 v[6:7], 1, v[6:7]
	v_mov_b32_e32 v8, s10
	v_add_co_u32_e32 v6, vcc, s5, v6
	v_addc_co_u32_e32 v7, vcc, v8, v7, vcc
	global_load_ushort v6, v[6:7], off
	s_and_b64 vcc, exec, s[0:1]
	s_waitcnt vmcnt(0)
	ds_write_b16 v1, v6 offset:512
	v_pk_mov_b32 v[6:7], v[2:3], v[2:3] op_sel:[0,1]
	s_cbranch_vccnz .LBB31_9
; %bb.8:
	global_load_dword v6, v[4:5], off
	s_waitcnt vmcnt(0)
	v_ashrrev_i32_e32 v7, 31, v6
.LBB31_9:
	s_add_i32 s4, s4, s21
	s_ashr_i32 s5, s4, 31
	s_lshl_b64 s[10:11], s[4:5], 1
	s_add_u32 s5, s8, s10
	s_addc_u32 s10, s9, s11
	v_lshlrev_b64 v[6:7], 1, v[6:7]
	v_mov_b32_e32 v8, s10
	v_add_co_u32_e32 v6, vcc, s5, v6
	v_addc_co_u32_e32 v7, vcc, v8, v7, vcc
	global_load_ushort v6, v[6:7], off
	s_and_b64 vcc, exec, s[0:1]
	s_waitcnt vmcnt(0)
	ds_write_b16 v1, v6 offset:768
	s_cbranch_vccnz .LBB31_11
; %bb.10:
	global_load_dword v2, v[4:5], off
	s_waitcnt vmcnt(0)
	v_ashrrev_i32_e32 v3, 31, v2
.LBB31_11:
	s_add_i32 s0, s4, s21
	s_ashr_i32 s1, s0, 31
	s_lshl_b64 s[0:1], s[0:1], 1
	s_add_u32 s0, s8, s0
	s_addc_u32 s1, s9, s1
	v_lshlrev_b64 v[2:3], 1, v[2:3]
	v_mov_b32_e32 v4, s1
	v_add_co_u32_e32 v2, vcc, s0, v2
	v_addc_co_u32_e32 v3, vcc, v4, v3, vcc
	global_load_ushort v2, v[2:3], off
	s_waitcnt vmcnt(0)
	ds_write_b16 v1, v2 offset:1024
.LBB31_12:
	s_or_b64 exec, exec, s[2:3]
	v_lshlrev_b32_e32 v1, 2, v0
	v_lshl_add_u32 v4, s6, 9, v1
	v_cmp_gt_i32_e32 vcc, s20, v4
	s_and_saveexec_b64 s[0:1], vcc
	s_cbranch_execz .LBB31_38
; %bb.13:
	s_abs_i32 s0, s22
	v_cvt_f32_u32_e32 v1, s0
	s_mov_b32 s2, 0
	v_mov_b32_e32 v24, 0
	v_mov_b32_e32 v23, 0
	v_rcp_iflag_f32_e32 v1, v1
	v_mov_b32_e32 v21, 0
	v_mov_b32_e32 v20, 0
	s_cmp_ge_i32 s24, s25
	v_mul_f32_e32 v1, 0x4f7ffffe, v1
	v_cvt_u32_f32_e32 v1, v1
	v_mov_b32_e32 v19, 0
	v_mov_b32_e32 v18, 0
	;; [unrolled: 1-line block ×3, first 2 shown]
	v_readfirstlane_b32 s1, v1
	v_mov_b32_e32 v16, 0
	v_mov_b32_e32 v15, 0
	;; [unrolled: 1-line block ×3, first 2 shown]
	s_waitcnt lgkmcnt(0)
	s_barrier
	s_cbranch_scc1 .LBB31_18
; %bb.14:
	s_sub_i32 s6, 0, s0
	s_mul_i32 s6, s6, s1
	s_mul_hi_u32 s6, s1, s6
	s_abs_i32 s5, s21
	s_add_i32 s1, s1, s6
	s_ashr_i32 s3, s21, 31
	s_ashr_i32 s4, s22, 31
	s_mul_hi_u32 s1, s5, s1
	s_xor_b32 s3, s3, s4
	s_mul_i32 s4, s1, s0
	s_sub_i32 s4, s5, s4
	s_add_i32 s5, s1, 1
	s_sub_i32 s6, s4, s0
	s_cmp_ge_u32 s4, s0
	s_cselect_b32 s1, s5, s1
	s_cselect_b32 s4, s6, s4
	s_add_i32 s5, s1, 1
	s_cmp_ge_u32 s4, s0
	s_cselect_b32 s0, s5, s1
	s_xor_b32 s0, s0, s3
	s_sub_i32 s3, s0, s3
	v_cvt_f32_u32_e32 v1, s3
	s_bitcmp1_b32 s23, 0
	s_cselect_b64 s[0:1], -1, 0
	s_sub_i32 s4, 0, s3
	v_rcp_iflag_f32_e32 v1, v1
	s_xor_b64 s[0:1], s[0:1], -1
	v_ashrrev_i32_e32 v5, 31, v4
	v_lshrrev_b32_e32 v2, 28, v5
	v_mul_f32_e32 v1, 0x4f7ffffe, v1
	v_cvt_u32_f32_e32 v1, v1
	v_add_u32_e32 v2, v4, v2
	v_ashrrev_i32_e32 v22, 4, v2
	v_mov_b32_e32 v14, 0
	v_readfirstlane_b32 s5, v1
	s_mul_i32 s4, s4, s5
	s_mul_hi_u32 s4, s5, s4
	s_add_i32 s5, s5, s4
	s_mul_hi_u32 s4, s24, s5
	s_mul_i32 s5, s4, s3
	s_sub_i32 s5, s24, s5
	s_add_i32 s6, s4, 1
	s_sub_i32 s8, s5, s3
	s_cmp_ge_u32 s5, s3
	s_cselect_b32 s4, s6, s4
	s_cselect_b32 s5, s8, s5
	s_add_i32 s6, s4, 1
	s_cmp_ge_u32 s5, s3
	s_cselect_b32 s4, s6, s4
	s_mul_i32 s5, s4, s20
	s_ashr_i32 s6, s5, 31
	s_lshr_b32 s6, s6, 28
	v_add_u32_e32 v2, s5, v4
	s_add_i32 s5, s5, s6
	s_ashr_i32 s5, s5, 4
	v_add_u32_e32 v6, s5, v22
	v_ashrrev_i32_e32 v7, 31, v6
	v_lshlrev_b64 v[6:7], 2, v[6:7]
	v_ashrrev_i32_e32 v3, 31, v2
	v_mov_b32_e32 v1, s15
	v_add_co_u32_e32 v6, vcc, s14, v6
	v_lshlrev_b64 v[2:3], 1, v[2:3]
	v_addc_co_u32_e32 v7, vcc, v1, v7, vcc
	global_load_dword v10, v[6:7], off
	v_mov_b32_e32 v1, s17
	v_add_co_u32_e32 v2, vcc, s16, v2
	v_addc_co_u32_e32 v3, vcc, v1, v3, vcc
	global_load_dwordx2 v[6:7], v[2:3], off
	v_lshlrev_b32_e32 v2, 3, v0
	v_lshlrev_b64 v[0:1], 2, v[4:5]
	v_cndmask_b32_e64 v5, 0, 1, s[0:1]
	s_lshr_b32 s0, s24, 4
	s_mul_i32 s0, s0, s20
	s_ashr_i32 s1, s0, 31
	s_add_i32 s10, s3, s24
	s_ashr_i32 s21, s20, 31
	s_lshl_b64 s[0:1], s[0:1], 2
	s_add_u32 s11, s12, s0
	s_addc_u32 s12, s13, s1
	v_mov_b32_e32 v3, s12
	v_add_co_u32_e32 v0, vcc, s11, v0
	v_addc_co_u32_e32 v1, vcc, v3, v1, vcc
	v_and_b32_e32 v25, 24, v2
	v_add_co_u32_e32 v8, vcc, 8, v0
	s_movk_i32 s5, 0x3400
	s_movk_i32 s6, 0x2c00
	s_movk_i32 s8, 0x2400
	s_mov_b32 s9, 0x7060302
	v_mov_b32_e32 v15, 0
	v_mov_b32_e32 v16, 0
	;; [unrolled: 1-line block ×8, first 2 shown]
	s_lshl_b64 s[0:1], s[20:21], 2
	v_addc_co_u32_e32 v9, vcc, 0, v1, vcc
	v_mov_b32_e32 v24, 0
	s_waitcnt vmcnt(1)
	v_lshrrev_b32_e32 v0, v2, v10
	v_bfe_u32 v26, v10, v25, 2
	v_bfe_u32 v27, v0, 2, 2
	;; [unrolled: 1-line block ×4, first 2 shown]
	s_branch .LBB31_16
.LBB31_15:                              ;   in Loop: Header=BB31_16 Depth=1
	global_load_dwordx4 v[0:3], v[8:9], off offset:-8
	v_add_u32_e32 v10, v26, v5
	v_add_u32_e32 v13, v29, v5
	v_or_b32_e32 v34, 0xffffe400, v10
	v_cvt_f32_i32_e32 v10, v10
	v_or_b32_e32 v58, 0xffffe400, v13
	v_cvt_f32_i32_e32 v13, v13
	v_add_u32_e32 v11, v27, v5
	v_add_u32_e32 v12, v28, v5
	v_or_b32_e32 v35, 0xffffe400, v11
	v_cvt_f32_i32_e32 v11, v11
	v_or_b32_e32 v48, 0xffffe400, v12
	v_cvt_f32_i32_e32 v12, v12
	v_cvt_f16_f32_e32 v10, v10
	v_cvt_f16_f32_e32 v13, v13
	;; [unrolled: 1-line block ×4, first 2 shown]
	v_sub_f16_e32 v36, 0xdc00, v10
	v_sub_f16_e32 v37, 0xd400, v10
	;; [unrolled: 1-line block ×12, first 2 shown]
	s_add_i32 s11, s2, 0x400
	s_add_i32 s24, s24, 16
	v_add_co_u32_e32 v8, vcc, s0, v8
	s_waitcnt vmcnt(0)
	v_and_b32_e32 v13, 0x30003, v0
	v_and_b32_e32 v30, 0xc000c, v0
	v_and_b32_e32 v31, 0x300030, v0
	v_and_b32_e32 v32, 0xc000c0, v0
	v_lshrrev_b32_e32 v0, 8, v0
	v_and_b32_e32 v33, 0x30003, v1
	v_and_b32_e32 v38, 0xc000c, v1
	;; [unrolled: 1-line block ×4, first 2 shown]
	v_lshrrev_b32_e32 v1, 8, v1
	v_and_b32_e32 v42, 0xc000c, v2
	v_and_b32_e32 v47, 0x30003, v0
	v_and_b32_e32 v51, 0xc000c, v0
	v_and_b32_e32 v52, 0x300030, v0
	v_and_b32_e32 v0, 0xc000c0, v0
	v_and_b32_e32 v56, 0x30003, v1
	v_and_b32_e32 v57, 0xc000c, v1
	v_and_b32_e32 v61, 0x300030, v1
	v_and_b32_e32 v1, 0xc000c0, v1
	v_and_b32_e32 v41, 0x30003, v2
	v_and_b32_e32 v46, 0x300030, v2
	v_or_b32_e32 v13, 0x64006400, v13
	v_or_b32_e32 v31, 0x64006400, v31
	v_or_b32_e32 v32, 0x64006400, v32
	v_or_b32_e32 v63, 0x64006400, v42
	v_or_b32_e32 v42, 0x64006400, v47
	v_or_b32_e32 v47, 0x64006400, v51
	v_or_b32_e32 v51, 0x64006400, v52
	v_or_b32_e32 v0, 0x64006400, v0
	v_or_b32_e32 v1, 0x64006400, v1
	v_or_b32_e32 v30, 0x64006400, v30
	v_or_b32_e32 v33, 0x64006400, v33
	v_or_b32_e32 v53, 0x64006400, v38
	v_or_b32_e32 v55, 0x64006400, v40
	v_or_b32_e32 v62, 0x64006400, v41
	v_pk_add_f16 v38, v34, v13 op_sel_hi:[0,1]
	v_pk_fma_f16 v40, v31, s6, v37 op_sel_hi:[1,0,0]
	v_pk_fma_f16 v41, v32, s8, v43 op_sel_hi:[1,0,0]
	v_or_b32_e32 v13, 0x64006400, v56
	v_or_b32_e32 v56, 0x64006400, v57
	v_pk_add_f16 v52, v34, v42 op_sel_hi:[0,1]
	v_pk_fma_f16 v42, v51, s6, v37 op_sel_hi:[1,0,0]
	v_pk_fma_f16 v43, v0, s8, v43 op_sel_hi:[1,0,0]
	;; [unrolled: 1-line block ×3, first 2 shown]
	v_or_b32_e32 v0, 0x64006400, v46
	v_and_b32_e32 v1, 0xc000c0, v2
	v_lshrrev_b32_e32 v2, 8, v2
	v_or_b32_e32 v54, 0x64006400, v39
	v_pk_fma_f16 v39, v30, s5, v36 op_sel_hi:[1,0,0]
	v_pk_add_f16 v30, v35, v33 op_sel_hi:[0,1]
	v_pk_fma_f16 v31, v53, s5, v44 op_sel_hi:[1,0,0]
	v_pk_fma_f16 v33, v55, s8, v11 op_sel_hi:[1,0,0]
	v_pk_add_f16 v34, v35, v13 op_sel_hi:[0,1]
	v_pk_fma_f16 v35, v56, s5, v44 op_sel_hi:[1,0,0]
	v_or_b32_e32 v1, 0x64006400, v1
	v_and_b32_e32 v11, 0x30003, v2
	v_and_b32_e32 v13, 0xc000c, v2
	;; [unrolled: 1-line block ×4, first 2 shown]
	v_pk_fma_f16 v46, v0, s6, v50 op_sel_hi:[1,0,0]
	v_and_b32_e32 v0, 0x30003, v3
	v_pk_fma_f16 v53, v47, s5, v36 op_sel_hi:[1,0,0]
	v_or_b32_e32 v51, 0x64006400, v44
	v_or_b32_e32 v2, 0x64006400, v2
	v_pk_fma_f16 v47, v1, s8, v12 op_sel_hi:[1,0,0]
	v_or_b32_e32 v1, 0x64006400, v0
	v_and_b32_e32 v0, 0xc000c, v3
	v_or_b32_e32 v11, 0x64006400, v11
	v_pk_fma_f16 v50, v51, s6, v50 op_sel_hi:[1,0,0]
	v_pk_fma_f16 v51, v2, s8, v12 op_sel_hi:[1,0,0]
	v_or_b32_e32 v2, 0x64006400, v0
	v_and_b32_e32 v0, 0x300030, v3
	v_pk_add_f16 v44, v48, v62 op_sel_hi:[0,1]
	v_pk_add_f16 v48, v48, v11 op_sel_hi:[0,1]
	v_or_b32_e32 v11, 0x64006400, v0
	v_and_b32_e32 v0, 0xc000c0, v3
	v_or_b32_e32 v57, 0x64006400, v61
	v_or_b32_e32 v13, 0x64006400, v13
	;; [unrolled: 1-line block ×3, first 2 shown]
	v_lshrrev_b32_e32 v0, 8, v3
	v_pk_fma_f16 v32, v54, s6, v45 op_sel_hi:[1,0,0]
	v_pk_fma_f16 v36, v57, s6, v45 op_sel_hi:[1,0,0]
	;; [unrolled: 1-line block ×4, first 2 shown]
	v_and_b32_e32 v13, 0xc000c, v0
	v_or_b32_e32 v13, 0x64006400, v13
	v_mov_b32_e32 v62, s2
	v_pk_fma_f16 v55, v2, s5, v59 op_sel_hi:[1,0,0]
	v_pk_fma_f16 v57, v12, s8, v10 op_sel_hi:[1,0,0]
	;; [unrolled: 1-line block ×3, first 2 shown]
	ds_read2_b32 v[12:13], v62 offset1:1
	v_and_b32_e32 v3, 0x30003, v0
	v_and_b32_e32 v54, 0x300030, v0
	;; [unrolled: 1-line block ×3, first 2 shown]
	v_or_b32_e32 v3, 0x64006400, v3
	v_or_b32_e32 v61, 0x64006400, v54
	;; [unrolled: 1-line block ×3, first 2 shown]
	v_pk_add_f16 v54, v58, v1 op_sel_hi:[0,1]
	v_pk_fma_f16 v56, v11, s6, v60 op_sel_hi:[1,0,0]
	v_pk_add_f16 v58, v58, v3 op_sel_hi:[0,1]
	v_pk_fma_f16 v60, v61, s6, v60 op_sel_hi:[1,0,0]
	v_pk_fma_f16 v61, v0, s8, v10 op_sel_hi:[1,0,0]
	ds_read2_b32 v[10:11], v62 offset0:2 offset1:3
	ds_read2_b32 v[2:3], v62 offset0:4 offset1:5
	;; [unrolled: 1-line block ×3, first 2 shown]
	s_waitcnt lgkmcnt(3)
	v_pk_fma_f16 v63, v38, v12, 0
	v_pk_fma_f16 v64, v30, v12, 0
	v_pk_fma_f16 v63, v39, v13, v63
	v_pk_fma_f16 v64, v31, v13, v64
	s_waitcnt lgkmcnt(2)
	v_pk_fma_f16 v63, v40, v10, v63
	v_pk_fma_f16 v64, v32, v10, v64
	v_pk_fma_f16 v63, v41, v11, v63
	v_pk_fma_f16 v64, v33, v11, v64
	;; [unrolled: 5-line block ×4, first 2 shown]
	v_pack_b32_f16 v65, v63, v64
	v_perm_b32 v63, v64, v63, s9
	v_pk_add_f16 v63, v65, v63
	v_pk_fma_f16 v24, v63, v6, v24
	v_pk_fma_f16 v63, v44, v12, 0
	;; [unrolled: 1-line block ×17, first 2 shown]
	v_pack_b32_f16 v1, v63, v0
	v_perm_b32 v0, v0, v63, s9
	v_pk_add_f16 v2, v1, v0
	ds_read2_b32 v[0:1], v62 offset0:64 offset1:65
	v_pk_fma_f16 v23, v2, v7, v23
	ds_read2_b32 v[2:3], v62 offset0:66 offset1:67
	ds_read2_b32 v[10:11], v62 offset0:68 offset1:69
	;; [unrolled: 1-line block ×3, first 2 shown]
	s_waitcnt lgkmcnt(3)
	v_pk_fma_f16 v63, v38, v0, 0
	v_pk_fma_f16 v64, v30, v0, 0
	v_pk_fma_f16 v63, v39, v1, v63
	v_pk_fma_f16 v64, v31, v1, v64
	s_waitcnt lgkmcnt(2)
	v_pk_fma_f16 v63, v40, v2, v63
	v_pk_fma_f16 v64, v32, v2, v64
	v_pk_fma_f16 v63, v41, v3, v63
	v_pk_fma_f16 v64, v33, v3, v64
	;; [unrolled: 5-line block ×4, first 2 shown]
	v_pack_b32_f16 v65, v63, v64
	v_perm_b32 v63, v64, v63, s9
	v_pk_add_f16 v63, v65, v63
	v_pk_fma_f16 v21, v63, v6, v21
	v_pk_fma_f16 v63, v44, v0, 0
	;; [unrolled: 1-line block ×17, first 2 shown]
	v_pack_b32_f16 v1, v63, v0
	v_perm_b32 v0, v0, v63, s9
	v_pk_add_f16 v2, v1, v0
	ds_read2_b32 v[0:1], v62 offset0:128 offset1:129
	v_pk_fma_f16 v20, v2, v7, v20
	ds_read2_b32 v[2:3], v62 offset0:130 offset1:131
	ds_read2_b32 v[10:11], v62 offset0:132 offset1:133
	;; [unrolled: 1-line block ×3, first 2 shown]
	s_waitcnt lgkmcnt(3)
	v_pk_fma_f16 v63, v38, v0, 0
	v_pk_fma_f16 v64, v30, v0, 0
	v_pk_fma_f16 v63, v39, v1, v63
	v_pk_fma_f16 v64, v31, v1, v64
	s_waitcnt lgkmcnt(2)
	v_pk_fma_f16 v63, v40, v2, v63
	v_pk_fma_f16 v64, v32, v2, v64
	v_pk_fma_f16 v63, v41, v3, v63
	v_pk_fma_f16 v64, v33, v3, v64
	;; [unrolled: 5-line block ×4, first 2 shown]
	v_pack_b32_f16 v65, v63, v64
	v_perm_b32 v63, v64, v63, s9
	v_pk_add_f16 v63, v65, v63
	v_pk_fma_f16 v19, v63, v6, v19
	v_pk_fma_f16 v63, v44, v0, 0
	;; [unrolled: 1-line block ×17, first 2 shown]
	ds_read2_b32 v[12:13], v62 offset0:192 offset1:193
	v_pack_b32_f16 v1, v63, v0
	v_perm_b32 v0, v0, v63, s9
	v_pk_add_f16 v0, v1, v0
	v_pk_fma_f16 v18, v0, v7, v18
	ds_read2_b32 v[10:11], v62 offset0:194 offset1:195
	ds_read2_b32 v[2:3], v62 offset0:196 offset1:197
	;; [unrolled: 1-line block ×3, first 2 shown]
	s_waitcnt lgkmcnt(3)
	v_pk_fma_f16 v62, v38, v12, 0
	v_pk_fma_f16 v63, v30, v12, 0
	v_pk_fma_f16 v62, v39, v13, v62
	v_pk_fma_f16 v63, v31, v13, v63
	s_waitcnt lgkmcnt(2)
	v_pk_fma_f16 v62, v40, v10, v62
	v_pk_fma_f16 v63, v32, v10, v63
	v_pk_fma_f16 v62, v41, v11, v62
	v_pk_fma_f16 v63, v33, v11, v63
	;; [unrolled: 5-line block ×4, first 2 shown]
	v_pack_b32_f16 v64, v62, v63
	v_perm_b32 v62, v63, v62, s9
	v_pk_add_f16 v62, v64, v62
	v_pk_fma_f16 v17, v62, v6, v17
	v_pk_fma_f16 v62, v44, v12, 0
	;; [unrolled: 1-line block ×17, first 2 shown]
	v_pack_b32_f16 v1, v62, v0
	v_perm_b32 v0, v0, v62, s9
	v_pk_add_f16 v0, v1, v0
	v_pk_fma_f16 v16, v0, v7, v16
	v_mov_b32_e32 v0, s11
	s_add_i32 s11, s2, 0x408
	ds_read2_b32 v[0:1], v0 offset1:1
	v_mov_b32_e32 v2, s11
	s_add_i32 s11, s2, 0x410
	v_mov_b32_e32 v10, s11
	s_add_i32 s11, s2, 0x418
	v_mov_b32_e32 v12, s11
	ds_read2_b32 v[2:3], v2 offset1:1
	ds_read2_b32 v[10:11], v10 offset1:1
	;; [unrolled: 1-line block ×3, first 2 shown]
	s_waitcnt lgkmcnt(3)
	v_pk_fma_f16 v38, v38, v0, 0
	v_pk_fma_f16 v30, v30, v0, 0
	v_pk_fma_f16 v38, v39, v1, v38
	v_pk_fma_f16 v30, v31, v1, v30
	s_waitcnt lgkmcnt(2)
	v_pk_fma_f16 v38, v40, v2, v38
	v_pk_fma_f16 v30, v32, v2, v30
	v_pk_fma_f16 v38, v41, v3, v38
	v_pk_fma_f16 v30, v33, v3, v30
	;; [unrolled: 5-line block ×4, first 2 shown]
	v_pack_b32_f16 v31, v38, v30
	v_perm_b32 v30, v30, v38, s9
	v_pk_add_f16 v30, v31, v30
	v_pk_fma_f16 v15, v30, v6, v15
	v_pk_fma_f16 v30, v44, v0, 0
	;; [unrolled: 1-line block ×17, first 2 shown]
	v_pack_b32_f16 v1, v30, v0
	v_perm_b32 v0, v0, v30, s9
	v_pk_add_f16 v0, v1, v0
	v_pk_fma_f16 v14, v0, v7, v14
	v_mov_b32_e32 v0, s1
	s_add_i32 s2, s2, 32
	s_cmp_ge_i32 s24, s25
	v_addc_co_u32_e32 v9, vcc, v9, v0, vcc
	s_cbranch_scc1 .LBB31_18
.LBB31_16:                              ; =>This Inner Loop Header: Depth=1
	s_cmp_lg_u32 s24, s10
	s_cbranch_scc1 .LBB31_15
; %bb.17:                               ;   in Loop: Header=BB31_16 Depth=1
	s_add_i32 s4, s4, 1
	s_mul_i32 s11, s4, s20
	s_ashr_i32 s12, s11, 31
	s_lshr_b32 s12, s12, 28
	s_add_i32 s12, s11, s12
	s_ashr_i32 s12, s12, 4
	v_add_u32_e32 v0, s12, v22
	v_ashrrev_i32_e32 v1, 31, v0
	v_lshlrev_b64 v[0:1], 2, v[0:1]
	v_mov_b32_e32 v2, s15
	v_add_co_u32_e32 v0, vcc, s14, v0
	v_addc_co_u32_e32 v1, vcc, v2, v1, vcc
	global_load_dword v2, v[0:1], off
	v_add_u32_e32 v0, s11, v4
	v_ashrrev_i32_e32 v1, 31, v0
	v_lshlrev_b64 v[0:1], 1, v[0:1]
	v_mov_b32_e32 v3, s17
	v_add_co_u32_e32 v0, vcc, s16, v0
	v_addc_co_u32_e32 v1, vcc, v3, v1, vcc
	global_load_dwordx2 v[6:7], v[0:1], off
	s_add_i32 s10, s10, s3
	s_waitcnt vmcnt(1)
	v_lshrrev_b32_e32 v0, v25, v2
	v_bfe_u32 v26, v2, v25, 2
	v_bfe_u32 v27, v0, 2, 2
	;; [unrolled: 1-line block ×4, first 2 shown]
	s_branch .LBB31_15
.LBB31_18:
	s_mul_i32 s7, s7, s20
	v_add_u32_e32 v0, s7, v4
	v_ashrrev_i32_e32 v1, 31, v0
	v_lshlrev_b64 v[2:3], 1, v[0:1]
	v_mov_b32_e32 v1, s19
	v_add_co_u32_e32 v2, vcc, s18, v2
	v_addc_co_u32_e32 v3, vcc, v1, v3, vcc
	global_load_dword v5, v[2:3], off
	s_mov_b64 s[0:1], 0
.LBB31_19:                              ; =>This Inner Loop Header: Depth=1
	s_waitcnt vmcnt(0)
	v_pk_add_f16 v4, v24, v5
	global_atomic_cmpswap v1, v[2:3], v[4:5], off glc
	s_waitcnt vmcnt(0)
	v_cmp_eq_u32_e32 vcc, v5, v1
	s_or_b64 s[0:1], vcc, s[0:1]
	v_mov_b32_e32 v5, v1
	s_andn2_b64 exec, exec, s[0:1]
	s_cbranch_execnz .LBB31_19
; %bb.20:
	s_or_b64 exec, exec, s[0:1]
	global_load_dword v5, v[2:3], off offset:4
	s_mov_b64 s[0:1], 0
.LBB31_21:                              ; =>This Inner Loop Header: Depth=1
	s_waitcnt vmcnt(0)
	v_pk_add_f16 v4, v23, v5
	global_atomic_cmpswap v1, v[2:3], v[4:5], off offset:4 glc
	s_waitcnt vmcnt(0)
	v_cmp_eq_u32_e32 vcc, v5, v1
	s_or_b64 s[0:1], vcc, s[0:1]
	v_mov_b32_e32 v5, v1
	s_andn2_b64 exec, exec, s[0:1]
	s_cbranch_execnz .LBB31_21
; %bb.22:
	s_or_b64 exec, exec, s[0:1]
	v_add_u32_e32 v0, s20, v0
	v_ashrrev_i32_e32 v1, 31, v0
	v_lshlrev_b64 v[2:3], 1, v[0:1]
	v_mov_b32_e32 v1, s19
	v_add_co_u32_e32 v2, vcc, s18, v2
	v_addc_co_u32_e32 v3, vcc, v1, v3, vcc
	global_load_dword v5, v[2:3], off
	s_mov_b64 s[0:1], 0
.LBB31_23:                              ; =>This Inner Loop Header: Depth=1
	s_waitcnt vmcnt(0)
	v_pk_add_f16 v4, v21, v5
	global_atomic_cmpswap v1, v[2:3], v[4:5], off glc
	s_waitcnt vmcnt(0)
	v_cmp_eq_u32_e32 vcc, v5, v1
	s_or_b64 s[0:1], vcc, s[0:1]
	v_mov_b32_e32 v5, v1
	s_andn2_b64 exec, exec, s[0:1]
	s_cbranch_execnz .LBB31_23
; %bb.24:
	s_or_b64 exec, exec, s[0:1]
	global_load_dword v5, v[2:3], off offset:4
	s_mov_b64 s[0:1], 0
.LBB31_25:                              ; =>This Inner Loop Header: Depth=1
	s_waitcnt vmcnt(0)
	v_pk_add_f16 v4, v20, v5
	global_atomic_cmpswap v1, v[2:3], v[4:5], off offset:4 glc
	s_waitcnt vmcnt(0)
	v_cmp_eq_u32_e32 vcc, v5, v1
	s_or_b64 s[0:1], vcc, s[0:1]
	v_mov_b32_e32 v5, v1
	s_andn2_b64 exec, exec, s[0:1]
	s_cbranch_execnz .LBB31_25
; %bb.26:
	s_or_b64 exec, exec, s[0:1]
	v_add_u32_e32 v0, s20, v0
	v_ashrrev_i32_e32 v1, 31, v0
	v_lshlrev_b64 v[2:3], 1, v[0:1]
	v_mov_b32_e32 v1, s19
	v_add_co_u32_e32 v2, vcc, s18, v2
	v_addc_co_u32_e32 v3, vcc, v1, v3, vcc
	global_load_dword v5, v[2:3], off
	s_mov_b64 s[0:1], 0
.LBB31_27:                              ; =>This Inner Loop Header: Depth=1
	s_waitcnt vmcnt(0)
	v_pk_add_f16 v4, v19, v5
	global_atomic_cmpswap v1, v[2:3], v[4:5], off glc
	s_waitcnt vmcnt(0)
	v_cmp_eq_u32_e32 vcc, v5, v1
	s_or_b64 s[0:1], vcc, s[0:1]
	v_mov_b32_e32 v5, v1
	s_andn2_b64 exec, exec, s[0:1]
	s_cbranch_execnz .LBB31_27
; %bb.28:
	s_or_b64 exec, exec, s[0:1]
	global_load_dword v5, v[2:3], off offset:4
	s_mov_b64 s[0:1], 0
.LBB31_29:                              ; =>This Inner Loop Header: Depth=1
	s_waitcnt vmcnt(0)
	v_pk_add_f16 v4, v18, v5
	global_atomic_cmpswap v1, v[2:3], v[4:5], off offset:4 glc
	s_waitcnt vmcnt(0)
	v_cmp_eq_u32_e32 vcc, v5, v1
	s_or_b64 s[0:1], vcc, s[0:1]
	v_mov_b32_e32 v5, v1
	s_andn2_b64 exec, exec, s[0:1]
	s_cbranch_execnz .LBB31_29
; %bb.30:
	s_or_b64 exec, exec, s[0:1]
	v_add_u32_e32 v0, s20, v0
	v_ashrrev_i32_e32 v1, 31, v0
	v_lshlrev_b64 v[2:3], 1, v[0:1]
	v_mov_b32_e32 v1, s19
	v_add_co_u32_e32 v2, vcc, s18, v2
	v_addc_co_u32_e32 v3, vcc, v1, v3, vcc
	global_load_dword v5, v[2:3], off
	s_mov_b64 s[0:1], 0
.LBB31_31:                              ; =>This Inner Loop Header: Depth=1
	s_waitcnt vmcnt(0)
	v_pk_add_f16 v4, v17, v5
	global_atomic_cmpswap v1, v[2:3], v[4:5], off glc
	s_waitcnt vmcnt(0)
	v_cmp_eq_u32_e32 vcc, v5, v1
	s_or_b64 s[0:1], vcc, s[0:1]
	v_mov_b32_e32 v5, v1
	s_andn2_b64 exec, exec, s[0:1]
	s_cbranch_execnz .LBB31_31
; %bb.32:
	s_or_b64 exec, exec, s[0:1]
	global_load_dword v5, v[2:3], off offset:4
	s_mov_b64 s[0:1], 0
.LBB31_33:                              ; =>This Inner Loop Header: Depth=1
	s_waitcnt vmcnt(0)
	v_pk_add_f16 v4, v16, v5
	global_atomic_cmpswap v1, v[2:3], v[4:5], off offset:4 glc
	s_waitcnt vmcnt(0)
	v_cmp_eq_u32_e32 vcc, v5, v1
	s_or_b64 s[0:1], vcc, s[0:1]
	v_mov_b32_e32 v5, v1
	s_andn2_b64 exec, exec, s[0:1]
	s_cbranch_execnz .LBB31_33
; %bb.34:
	s_or_b64 exec, exec, s[0:1]
	v_add_u32_e32 v0, s20, v0
	v_ashrrev_i32_e32 v1, 31, v0
	v_lshlrev_b64 v[0:1], 1, v[0:1]
	v_mov_b32_e32 v2, s19
	v_add_co_u32_e32 v0, vcc, s18, v0
	v_addc_co_u32_e32 v1, vcc, v2, v1, vcc
	global_load_dword v3, v[0:1], off
	s_mov_b64 s[0:1], 0
.LBB31_35:                              ; =>This Inner Loop Header: Depth=1
	s_waitcnt vmcnt(0)
	v_pk_add_f16 v2, v15, v3
	global_atomic_cmpswap v2, v[0:1], v[2:3], off glc
	s_waitcnt vmcnt(0)
	v_cmp_eq_u32_e32 vcc, v3, v2
	s_or_b64 s[0:1], vcc, s[0:1]
	v_mov_b32_e32 v3, v2
	s_andn2_b64 exec, exec, s[0:1]
	s_cbranch_execnz .LBB31_35
; %bb.36:
	s_or_b64 exec, exec, s[0:1]
	global_load_dword v3, v[0:1], off offset:4
	s_mov_b64 s[0:1], 0
.LBB31_37:                              ; =>This Inner Loop Header: Depth=1
	s_waitcnt vmcnt(0)
	v_pk_add_f16 v2, v14, v3
	global_atomic_cmpswap v2, v[0:1], v[2:3], off offset:4 glc
	s_waitcnt vmcnt(0)
	v_cmp_eq_u32_e32 vcc, v3, v2
	s_or_b64 s[0:1], vcc, s[0:1]
	v_mov_b32_e32 v3, v2
	s_andn2_b64 exec, exec, s[0:1]
	s_cbranch_execnz .LBB31_37
.LBB31_38:
	s_endpgm
	.section	.rodata,"a",@progbits
	.p2align	6, 0x0
	.amdhsa_kernel _ZN4vllm4gptq33gemm_half_q_half_gptq_2bit_kernelILb1ELi5EEEvPK6__halfPKjS6_S4_PS2_iiiibPKi
		.amdhsa_group_segment_fixed_size 1280
		.amdhsa_private_segment_fixed_size 0
		.amdhsa_kernarg_size 72
		.amdhsa_user_sgpr_count 6
		.amdhsa_user_sgpr_private_segment_buffer 1
		.amdhsa_user_sgpr_dispatch_ptr 0
		.amdhsa_user_sgpr_queue_ptr 0
		.amdhsa_user_sgpr_kernarg_segment_ptr 1
		.amdhsa_user_sgpr_dispatch_id 0
		.amdhsa_user_sgpr_flat_scratch_init 0
		.amdhsa_user_sgpr_kernarg_preload_length 0
		.amdhsa_user_sgpr_kernarg_preload_offset 0
		.amdhsa_user_sgpr_private_segment_size 0
		.amdhsa_uses_dynamic_stack 0
		.amdhsa_system_sgpr_private_segment_wavefront_offset 0
		.amdhsa_system_sgpr_workgroup_id_x 1
		.amdhsa_system_sgpr_workgroup_id_y 1
		.amdhsa_system_sgpr_workgroup_id_z 1
		.amdhsa_system_sgpr_workgroup_info 0
		.amdhsa_system_vgpr_workitem_id 0
		.amdhsa_next_free_vgpr 66
		.amdhsa_next_free_sgpr 26
		.amdhsa_accum_offset 68
		.amdhsa_reserve_vcc 1
		.amdhsa_reserve_flat_scratch 0
		.amdhsa_float_round_mode_32 0
		.amdhsa_float_round_mode_16_64 0
		.amdhsa_float_denorm_mode_32 3
		.amdhsa_float_denorm_mode_16_64 3
		.amdhsa_dx10_clamp 1
		.amdhsa_ieee_mode 1
		.amdhsa_fp16_overflow 0
		.amdhsa_tg_split 0
		.amdhsa_exception_fp_ieee_invalid_op 0
		.amdhsa_exception_fp_denorm_src 0
		.amdhsa_exception_fp_ieee_div_zero 0
		.amdhsa_exception_fp_ieee_overflow 0
		.amdhsa_exception_fp_ieee_underflow 0
		.amdhsa_exception_fp_ieee_inexact 0
		.amdhsa_exception_int_div_zero 0
	.end_amdhsa_kernel
	.section	.text._ZN4vllm4gptq33gemm_half_q_half_gptq_2bit_kernelILb1ELi5EEEvPK6__halfPKjS6_S4_PS2_iiiibPKi,"axG",@progbits,_ZN4vllm4gptq33gemm_half_q_half_gptq_2bit_kernelILb1ELi5EEEvPK6__halfPKjS6_S4_PS2_iiiibPKi,comdat
.Lfunc_end31:
	.size	_ZN4vllm4gptq33gemm_half_q_half_gptq_2bit_kernelILb1ELi5EEEvPK6__halfPKjS6_S4_PS2_iiiibPKi, .Lfunc_end31-_ZN4vllm4gptq33gemm_half_q_half_gptq_2bit_kernelILb1ELi5EEEvPK6__halfPKjS6_S4_PS2_iiiibPKi
                                        ; -- End function
	.section	.AMDGPU.csdata,"",@progbits
; Kernel info:
; codeLenInByte = 4976
; NumSgprs: 30
; NumVgprs: 66
; NumAgprs: 0
; TotalNumVgprs: 66
; ScratchSize: 0
; MemoryBound: 0
; FloatMode: 240
; IeeeMode: 1
; LDSByteSize: 1280 bytes/workgroup (compile time only)
; SGPRBlocks: 3
; VGPRBlocks: 8
; NumSGPRsForWavesPerEU: 30
; NumVGPRsForWavesPerEU: 66
; AccumOffset: 68
; Occupancy: 7
; WaveLimiterHint : 0
; COMPUTE_PGM_RSRC2:SCRATCH_EN: 0
; COMPUTE_PGM_RSRC2:USER_SGPR: 6
; COMPUTE_PGM_RSRC2:TRAP_HANDLER: 0
; COMPUTE_PGM_RSRC2:TGID_X_EN: 1
; COMPUTE_PGM_RSRC2:TGID_Y_EN: 1
; COMPUTE_PGM_RSRC2:TGID_Z_EN: 1
; COMPUTE_PGM_RSRC2:TIDIG_COMP_CNT: 0
; COMPUTE_PGM_RSRC3_GFX90A:ACCUM_OFFSET: 16
; COMPUTE_PGM_RSRC3_GFX90A:TG_SPLIT: 0
	.section	.text._ZN4vllm4gptq33gemm_half_q_half_gptq_3bit_kernelILb1ELi5EEEvPK6__halfPKjS6_S4_PS2_iiiibPKi,"axG",@progbits,_ZN4vllm4gptq33gemm_half_q_half_gptq_3bit_kernelILb1ELi5EEEvPK6__halfPKjS6_S4_PS2_iiiibPKi,comdat
	.protected	_ZN4vllm4gptq33gemm_half_q_half_gptq_3bit_kernelILb1ELi5EEEvPK6__halfPKjS6_S4_PS2_iiiibPKi ; -- Begin function _ZN4vllm4gptq33gemm_half_q_half_gptq_3bit_kernelILb1ELi5EEEvPK6__halfPKjS6_S4_PS2_iiiibPKi
	.globl	_ZN4vllm4gptq33gemm_half_q_half_gptq_3bit_kernelILb1ELi5EEEvPK6__halfPKjS6_S4_PS2_iiiibPKi
	.p2align	8
	.type	_ZN4vllm4gptq33gemm_half_q_half_gptq_3bit_kernelILb1ELi5EEEvPK6__halfPKjS6_S4_PS2_iiiibPKi,@function
_ZN4vllm4gptq33gemm_half_q_half_gptq_3bit_kernelILb1ELi5EEEvPK6__halfPKjS6_S4_PS2_iiiibPKi: ; @_ZN4vllm4gptq33gemm_half_q_half_gptq_3bit_kernelILb1ELi5EEEvPK6__halfPKjS6_S4_PS2_iiiibPKi
; %bb.0:
	s_load_dwordx8 s[12:19], s[4:5], 0x8
	s_load_dwordx4 s[20:23], s[4:5], 0x2c
	s_lshl_b32 s25, s8, 7
	s_add_i32 s0, s25, 0x80
	v_cvt_f64_u32_e32 v[2:3], s0
	s_mul_i32 s24, s7, 5
	s_waitcnt lgkmcnt(0)
	v_cvt_f64_i32_e32 v[4:5], s21
	v_min_f64 v[2:3], v[2:3], v[4:5]
	v_cvt_i32_f64_e32 v1, v[2:3]
	v_add_u32_e32 v2, s25, v0
	v_readfirstlane_b32 s26, v1
	v_cmp_lt_u32_e32 vcc, v2, v1
	s_and_saveexec_b64 s[2:3], vcc
	s_cbranch_execz .LBB32_12
; %bb.1:
	s_load_dwordx2 s[0:1], s[4:5], 0x40
	s_load_dwordx2 s[8:9], s[4:5], 0x0
	v_mov_b32_e32 v3, 0
	v_lshlrev_b64 v[4:5], 2, v[2:3]
	v_pk_mov_b32 v[6:7], v[2:3], v[2:3] op_sel:[0,1]
	s_waitcnt lgkmcnt(0)
	s_cmp_lg_u64 s[0:1], 0
	v_mov_b32_e32 v1, s1
	v_add_co_u32_e32 v4, vcc, s0, v4
	s_cselect_b64 s[4:5], -1, 0
	s_cmp_eq_u64 s[0:1], 0
	v_addc_co_u32_e32 v5, vcc, v1, v5, vcc
	s_cbranch_scc1 .LBB32_3
; %bb.2:
	global_load_dword v6, v[4:5], off
	s_waitcnt vmcnt(0)
	v_ashrrev_i32_e32 v7, 31, v6
.LBB32_3:
	s_mul_i32 s10, s24, s21
	s_ashr_i32 s11, s10, 31
	s_lshl_b64 s[0:1], s[10:11], 1
	s_add_u32 s0, s8, s0
	s_addc_u32 s1, s9, s1
	v_lshlrev_b64 v[6:7], 1, v[6:7]
	v_mov_b32_e32 v1, s1
	v_add_co_u32_e32 v6, vcc, s0, v6
	v_addc_co_u32_e32 v7, vcc, v1, v7, vcc
	global_load_ushort v6, v[6:7], off
	v_lshlrev_b32_e32 v1, 1, v0
	v_cndmask_b32_e64 v7, 0, 1, s[4:5]
	v_cmp_ne_u32_e64 s[0:1], 1, v7
	s_andn2_b64 vcc, exec, s[4:5]
	s_waitcnt vmcnt(0)
	ds_write_b16 v1, v6
	v_pk_mov_b32 v[6:7], v[2:3], v[2:3] op_sel:[0,1]
	s_cbranch_vccnz .LBB32_5
; %bb.4:
	global_load_dword v6, v[4:5], off
	s_waitcnt vmcnt(0)
	v_ashrrev_i32_e32 v7, 31, v6
.LBB32_5:
	s_add_i32 s4, s10, s21
	s_ashr_i32 s5, s4, 31
	s_lshl_b64 s[10:11], s[4:5], 1
	s_add_u32 s5, s8, s10
	s_addc_u32 s7, s9, s11
	v_lshlrev_b64 v[6:7], 1, v[6:7]
	v_mov_b32_e32 v8, s7
	v_add_co_u32_e32 v6, vcc, s5, v6
	v_addc_co_u32_e32 v7, vcc, v8, v7, vcc
	global_load_ushort v6, v[6:7], off
	s_and_b64 vcc, exec, s[0:1]
	s_waitcnt vmcnt(0)
	ds_write_b16 v1, v6 offset:256
	v_pk_mov_b32 v[6:7], v[2:3], v[2:3] op_sel:[0,1]
	s_cbranch_vccnz .LBB32_7
; %bb.6:
	global_load_dword v6, v[4:5], off
	s_waitcnt vmcnt(0)
	v_ashrrev_i32_e32 v7, 31, v6
.LBB32_7:
	s_add_i32 s4, s4, s21
	s_ashr_i32 s5, s4, 31
	s_lshl_b64 s[10:11], s[4:5], 1
	s_add_u32 s5, s8, s10
	s_addc_u32 s7, s9, s11
	v_lshlrev_b64 v[6:7], 1, v[6:7]
	v_mov_b32_e32 v8, s7
	v_add_co_u32_e32 v6, vcc, s5, v6
	v_addc_co_u32_e32 v7, vcc, v8, v7, vcc
	global_load_ushort v6, v[6:7], off
	s_and_b64 vcc, exec, s[0:1]
	s_waitcnt vmcnt(0)
	ds_write_b16 v1, v6 offset:512
	;; [unrolled: 20-line block ×3, first 2 shown]
	s_cbranch_vccnz .LBB32_11
; %bb.10:
	global_load_dword v2, v[4:5], off
	s_waitcnt vmcnt(0)
	v_ashrrev_i32_e32 v3, 31, v2
.LBB32_11:
	s_add_i32 s0, s4, s21
	s_ashr_i32 s1, s0, 31
	s_lshl_b64 s[0:1], s[0:1], 1
	s_add_u32 s0, s8, s0
	s_addc_u32 s1, s9, s1
	v_lshlrev_b64 v[2:3], 1, v[2:3]
	v_mov_b32_e32 v4, s1
	v_add_co_u32_e32 v2, vcc, s0, v2
	v_addc_co_u32_e32 v3, vcc, v4, v3, vcc
	global_load_ushort v2, v[2:3], off
	s_waitcnt vmcnt(0)
	ds_write_b16 v1, v2 offset:1024
.LBB32_12:
	s_or_b64 exec, exec, s[2:3]
	v_lshlrev_b32_e32 v0, 2, v0
	v_lshl_add_u32 v12, s6, 9, v0
	v_cmp_gt_i32_e32 vcc, s20, v12
	s_and_saveexec_b64 s[0:1], vcc
	s_cbranch_execz .LBB32_70
; %bb.13:
	s_abs_i32 s0, s22
	v_cvt_f32_u32_e32 v1, s0
	s_sub_i32 s3, 0, s0
	s_abs_i32 s2, s21
	s_xor_b32 s1, s21, s22
	v_rcp_iflag_f32_e32 v1, v1
	s_ashr_i32 s1, s1, 31
	v_and_b32_e32 v2, 28, v0
	v_cmp_lt_u32_e32 vcc, 4, v2
	v_mul_f32_e32 v1, 0x4f7ffffe, v1
	v_cvt_u32_f32_e32 v1, v1
	s_waitcnt lgkmcnt(0)
	s_barrier
	v_readfirstlane_b32 s4, v1
	s_mul_i32 s3, s3, s4
	s_mul_hi_u32 s3, s4, s3
	s_add_i32 s4, s4, s3
	s_mul_hi_u32 s3, s2, s4
	s_mul_i32 s4, s3, s0
	s_sub_i32 s2, s2, s4
	s_add_i32 s5, s3, 1
	s_sub_i32 s4, s2, s0
	s_cmp_ge_u32 s2, s0
	s_cselect_b32 s3, s5, s3
	s_cselect_b32 s2, s4, s2
	s_add_i32 s4, s3, 1
	s_cmp_ge_u32 s2, s0
	s_cselect_b32 s0, s4, s3
	s_xor_b32 s0, s0, s1
	s_sub_i32 s27, s0, s1
	v_cvt_f32_u32_e32 v1, s27
	s_sub_i32 s0, 0, s27
                                        ; implicit-def: $vgpr3
                                        ; implicit-def: $vgpr4
	v_rcp_iflag_f32_e32 v1, v1
	v_mul_f32_e32 v1, 0x4f7ffffe, v1
	v_cvt_u32_f32_e32 v1, v1
	v_readfirstlane_b32 s1, v1
	s_mul_i32 s0, s0, s1
	s_mul_hi_u32 s0, s1, s0
	s_add_i32 s1, s1, s0
	s_mul_hi_u32 s0, s25, s1
	s_mul_i32 s1, s0, s27
	s_sub_i32 s1, s25, s1
	s_add_i32 s2, s0, 1
	s_sub_i32 s3, s1, s27
	s_cmp_ge_u32 s1, s27
	s_cselect_b32 s0, s2, s0
	s_cselect_b32 s1, s3, s1
	s_add_i32 s2, s0, 1
	s_cmp_ge_u32 s1, s27
	s_cselect_b32 s28, s2, s0
	s_and_saveexec_b64 s[0:1], vcc
	s_xor_b64 s[2:3], exec, s[0:1]
	s_cbranch_execz .LBB32_27
; %bb.14:
	v_cmp_ne_u32_e64 s[0:1], 8, v2
                                        ; implicit-def: $vgpr3
                                        ; implicit-def: $vgpr4
	s_and_saveexec_b64 s[4:5], s[0:1]
	s_xor_b64 s[4:5], exec, s[4:5]
	s_cbranch_execz .LBB32_24
; %bb.15:
	v_cmp_lt_u32_e64 s[0:1], 16, v2
                                        ; implicit-def: $vgpr3
                                        ; implicit-def: $vgpr4
	s_and_saveexec_b64 s[6:7], s[0:1]
	s_xor_b64 s[6:7], exec, s[6:7]
	s_cbranch_execz .LBB32_21
; %bb.16:
	s_mul_i32 s8, s28, s20
	v_lshl_add_u32 v0, v12, 1, v12
	s_ashr_i32 s0, s8, 31
	v_ashrrev_i32_e32 v1, 31, v0
	s_lshr_b32 s0, s0, 27
	v_lshrrev_b32_e32 v1, 27, v1
	s_add_i32 s0, s8, s0
	v_add_u32_e32 v0, v0, v1
	s_ashr_i32 s0, s0, 5
	v_ashrrev_i32_e32 v0, 5, v0
	v_mad_u64_u32 v[0:1], s[0:1], s0, 3, v[0:1]
	v_ashrrev_i32_e32 v1, 31, v0
	v_lshlrev_b64 v[0:1], 2, v[0:1]
	v_mov_b32_e32 v3, s15
	v_add_co_u32_e64 v0, s[0:1], s14, v0
	v_addc_co_u32_e64 v1, s[0:1], v3, v1, s[0:1]
	global_load_dword v5, v[0:1], off
	v_cmp_ne_u32_e64 s[0:1], 20, v2
                                        ; implicit-def: $vgpr3
	s_and_saveexec_b64 s[10:11], s[0:1]
	s_xor_b64 s[0:1], exec, s[10:11]
	s_cbranch_execz .LBB32_18
; %bb.17:
	v_not_b32_e32 v0, 63
	v_mad_u32_u24 v0, v2, 3, v0
	s_waitcnt vmcnt(0)
	v_lshrrev_b32_e32 v3, v0, v5
                                        ; implicit-def: $vgpr0_vgpr1
                                        ; implicit-def: $vgpr5
.LBB32_18:
	s_or_saveexec_b64 s[0:1], s[0:1]
	v_mov_b32_e32 v4, s8
	s_xor_b64 exec, exec, s[0:1]
	s_cbranch_execz .LBB32_20
; %bb.19:
	global_load_dword v0, v[0:1], off offset:4
	v_mov_b32_e32 v4, s8
	s_waitcnt vmcnt(0)
	v_alignbit_b32 v0, v0, v5, 28
	v_and_b32_e32 v3, 0xfff, v0
.LBB32_20:
	s_or_b64 exec, exec, s[0:1]
.LBB32_21:
	s_andn2_saveexec_b64 s[6:7], s[6:7]
	s_cbranch_execz .LBB32_23
; %bb.22:
	s_mul_i32 s8, s28, s20
	v_lshl_add_u32 v0, v12, 1, v12
	s_ashr_i32 s0, s8, 31
	v_ashrrev_i32_e32 v1, 31, v0
	s_lshr_b32 s0, s0, 27
	v_lshrrev_b32_e32 v1, 27, v1
	s_add_i32 s0, s8, s0
	v_add_u32_e32 v0, v0, v1
	s_ashr_i32 s0, s0, 5
	v_ashrrev_i32_e32 v0, 5, v0
	v_mad_u64_u32 v[0:1], s[0:1], s0, 3, v[0:1]
	v_ashrrev_i32_e32 v1, 31, v0
	v_lshlrev_b64 v[0:1], 2, v[0:1]
	v_mov_b32_e32 v3, s15
	v_add_co_u32_e64 v0, s[0:1], s14, v0
	v_addc_co_u32_e64 v1, s[0:1], v3, v1, s[0:1]
	global_load_dword v0, v[0:1], off
	v_not_b32_e32 v1, 31
	v_mad_u32_u24 v1, v2, 3, v1
	v_mov_b32_e32 v4, s8
	s_waitcnt vmcnt(0)
	v_lshrrev_b32_e32 v3, v1, v0
.LBB32_23:
	s_or_b64 exec, exec, s[6:7]
.LBB32_24:
	s_andn2_saveexec_b64 s[4:5], s[4:5]
	s_cbranch_execz .LBB32_26
; %bb.25:
	s_mul_i32 s6, s28, s20
	v_lshl_add_u32 v0, v12, 1, v12
	s_ashr_i32 s0, s6, 31
	v_ashrrev_i32_e32 v1, 31, v0
	s_lshr_b32 s0, s0, 27
	v_lshrrev_b32_e32 v1, 27, v1
	s_add_i32 s0, s6, s0
	v_add_u32_e32 v0, v0, v1
	s_ashr_i32 s0, s0, 5
	v_ashrrev_i32_e32 v0, 5, v0
	v_mad_u64_u32 v[0:1], s[0:1], s0, 3, v[0:1]
	v_ashrrev_i32_e32 v1, 31, v0
	v_lshlrev_b64 v[0:1], 2, v[0:1]
	v_mov_b32_e32 v3, s15
	v_add_co_u32_e64 v0, s[0:1], s14, v0
	v_addc_co_u32_e64 v1, s[0:1], v3, v1, s[0:1]
	global_load_dwordx2 v[0:1], v[0:1], off
	s_mov_b32 s0, 0x2010007
	v_mov_b32_e32 v4, s6
	s_waitcnt vmcnt(0)
	v_perm_b32 v0, v0, v1, s0
	v_and_b32_e32 v3, 0xfff, v0
.LBB32_26:
	s_or_b64 exec, exec, s[4:5]
.LBB32_27:
	s_or_saveexec_b64 s[2:3], s[2:3]
	v_lshl_add_u32 v0, v12, 1, v12
	v_ashrrev_i32_e32 v1, 31, v0
	v_mul_u32_u24_e32 v24, 3, v2
	s_xor_b64 exec, exec, s[2:3]
	s_cbranch_execz .LBB32_29
; %bb.28:
	s_mul_i32 s4, s28, s20
	s_ashr_i32 s0, s4, 31
	s_lshr_b32 s0, s0, 27
	v_lshrrev_b32_e32 v3, 27, v1
	s_add_i32 s0, s4, s0
	v_add_u32_e32 v3, v0, v3
	s_ashr_i32 s0, s0, 5
	v_ashrrev_i32_e32 v4, 5, v3
	s_waitcnt vmcnt(0)
	v_mad_u64_u32 v[4:5], s[0:1], s0, 3, v[4:5]
	v_ashrrev_i32_e32 v5, 31, v4
	v_lshlrev_b64 v[4:5], 2, v[4:5]
	v_mov_b32_e32 v3, s15
	v_add_co_u32_e64 v4, s[0:1], s14, v4
	v_addc_co_u32_e64 v5, s[0:1], v3, v5, s[0:1]
	global_load_dword v3, v[4:5], off
	v_mov_b32_e32 v4, s4
	s_waitcnt vmcnt(0)
	v_lshrrev_b32_e32 v3, v24, v3
.LBB32_29:
	s_or_b64 exec, exec, s[2:3]
	s_cmp_ge_i32 s25, s26
	v_mov_b32_e32 v28, 0
	v_mov_b32_e32 v27, 0
	;; [unrolled: 1-line block ×10, first 2 shown]
	s_cbranch_scc1 .LBB32_50
; %bb.30:
	v_add_u32_e32 v4, v4, v12
	s_waitcnt vmcnt(0)
	v_ashrrev_i32_e32 v5, 31, v4
	v_lshlrev_b64 v[4:5], 1, v[4:5]
	v_mov_b32_e32 v6, s17
	v_add_co_u32_e64 v4, s[0:1], s16, v4
	v_addc_co_u32_e64 v5, s[0:1], v6, v5, s[0:1]
	global_load_dwordx2 v[18:19], v[4:5], off
	s_lshr_b32 s0, s25, 5
	s_mul_i32 s0, s0, s20
	s_mul_i32 s6, s0, 3
	s_add_i32 s29, s27, s25
	s_ashr_i32 s7, s6, 31
	s_bitcmp1_b32 s23, 0
	v_lshrrev_b32_e32 v1, 27, v1
	s_cselect_b64 s[0:1], -1, 0
	v_add_u32_e32 v0, v0, v1
	s_xor_b64 s[0:1], s[0:1], -1
	v_ashrrev_i32_e32 v14, 5, v0
	v_not_b32_e32 v0, 63
	s_ashr_i32 s21, s20, 31
	s_lshl_b64 s[6:7], s[6:7], 2
	v_ashrrev_i32_e32 v13, 31, v12
	v_mad_u32_u24 v30, v2, 3, v0
	v_not_b32_e32 v0, 31
	s_add_u32 s6, s12, s6
	v_mad_u32_u24 v31, v2, 3, v0
	v_lshlrev_b64 v[0:1], 2, v[12:13]
	s_addc_u32 s7, s13, s7
	v_cndmask_b32_e64 v29, 0, 1, s[0:1]
	v_cmp_ne_u32_e64 s[0:1], 8, v2
	v_cmp_lt_u32_e64 s[2:3], 16, v2
	v_cmp_ne_u32_e64 s[4:5], 20, v2
	v_mov_b32_e32 v2, s7
	v_add_co_u32_e64 v16, s[6:7], s6, v0
	v_and_b32_e32 v32, 7, v3
	v_bfe_u32 v33, v3, 3, 3
	v_bfe_u32 v34, v3, 6, 3
	;; [unrolled: 1-line block ×3, first 2 shown]
	v_addc_co_u32_e64 v17, s[6:7], v2, v1, s[6:7]
	s_mul_hi_i32 s30, s20, 12
	s_mul_i32 s31, s20, 12
	s_lshl_b64 s[8:9], s[20:21], 2
	s_mov_b32 s21, 0
	v_mov_b32_e32 v13, 0
	s_mov_b32 s33, 0x2010007
	s_mov_b32 s34, 0x64006400
	;; [unrolled: 1-line block ×3, first 2 shown]
	s_movk_i32 s36, 0x3000
	s_movk_i32 s37, 0x2400
	s_mov_b32 s38, 0x7060302
	v_mov_b32_e32 v15, 0
	v_mov_b32_e32 v20, 0
	;; [unrolled: 1-line block ×9, first 2 shown]
	s_branch .LBB32_33
.LBB32_31:                              ;   in Loop: Header=BB32_33 Depth=1
	s_or_b64 exec, exec, s[6:7]
	v_add_u32_e32 v0, s39, v12
	v_ashrrev_i32_e32 v1, 31, v0
	v_lshlrev_b64 v[0:1], 1, v[0:1]
	s_waitcnt vmcnt(0)
	v_mov_b32_e32 v3, s17
	v_add_co_u32_e64 v0, s[6:7], s16, v0
	v_addc_co_u32_e64 v1, s[6:7], v3, v1, s[6:7]
	global_load_dwordx2 v[18:19], v[0:1], off
	s_add_i32 s29, s29, s27
	v_and_b32_e32 v32, 7, v2
	v_bfe_u32 v33, v2, 3, 3
	v_bfe_u32 v34, v2, 6, 3
	;; [unrolled: 1-line block ×3, first 2 shown]
.LBB32_32:                              ;   in Loop: Header=BB32_33 Depth=1
	global_load_dwordx4 v[8:11], v[16:17], off
	v_mov_b32_e32 v2, s9
	v_add_co_u32_e64 v0, s[6:7], s8, v16
	v_addc_co_u32_e64 v1, s[6:7], v17, v2, s[6:7]
	global_load_dwordx4 v[4:7], v[0:1], off
	v_add_co_u32_e64 v0, s[6:7], s8, v0
	v_addc_co_u32_e64 v1, s[6:7], v1, v2, s[6:7]
	global_load_dwordx4 v[0:3], v[0:1], off
	v_add_u32_e32 v37, v33, v29
	v_or_b32_e32 v83, 0xffffe400, v37
	v_cvt_f32_i32_e32 v37, v37
	v_add_u32_e32 v36, v32, v29
	v_add_u32_e32 v38, v34, v29
	;; [unrolled: 1-line block ×3, first 2 shown]
	v_or_b32_e32 v84, 0xffffe400, v36
	v_cvt_f32_i32_e32 v36, v36
	v_or_b32_e32 v80, 0xffffe400, v38
	v_cvt_f32_i32_e32 v38, v38
	;; [unrolled: 2-line block ×3, first 2 shown]
	v_cvt_f16_f32_e32 v43, v37
	v_cvt_f16_f32_e32 v42, v36
	v_cvt_f16_f32_e32 v44, v38
	v_cvt_f16_f32_e32 v45, v39
	v_sub_f16_e32 v78, 0xd800, v43
	v_mov_b32_e32 v60, s21
	v_sub_f16_e32 v69, 0xd800, v42
	v_sub_f16_e32 v82, 0xd800, v44
	;; [unrolled: 1-line block ×7, first 2 shown]
	s_add_i32 s6, s21, 0x400
	s_add_i32 s7, s21, 0x408
	;; [unrolled: 1-line block ×5, first 2 shown]
	s_waitcnt vmcnt(2)
	v_and_b32_e32 v36, 0x70007, v8
	v_and_b32_e32 v37, 0x380038, v8
	v_lshrrev_b32_e32 v53, 6, v8
	v_lshrrev_b32_e32 v86, 15, v8
	v_and_b32_e32 v8, 0x70007, v9
	v_and_b32_e32 v38, 0x380038, v9
	v_lshrrev_b32_e32 v63, 6, v9
	v_lshrrev_b32_e32 v85, 15, v9
	;; [unrolled: 4-line block ×4, first 2 shown]
	v_or_b32_e32 v10, 0x64006400, v36
	v_or_b32_e32 v11, 0x64006400, v37
	;; [unrolled: 1-line block ×4, first 2 shown]
	s_waitcnt vmcnt(1)
	v_and_b32_e32 v56, 0x70007, v4
	v_and_b32_e32 v52, 0x380038, v4
	v_lshrrev_b32_e32 v57, 6, v4
	v_lshrrev_b32_e32 v87, 14, v4
	v_pk_add_f16 v8, v84, v10 op_sel_hi:[0,1]
	v_pk_add_f16 v4, v83, v36 op_sel_hi:[0,1]
	v_pk_fma_f16 v10, v37, s36, v78 op_sel_hi:[1,0,0]
	ds_read2_b32 v[36:37], v60 offset1:1
	s_waitcnt vmcnt(0)
	v_and_b32_e32 v62, 0x70007, v0
	v_and_b32_e32 v64, 0x380038, v0
	v_lshrrev_b32_e32 v88, 6, v0
	v_lshrrev_b32_e32 v100, 13, v0
	v_or_b32_e32 v0, 0x64006400, v9
	v_and_b32_e32 v71, 0x70007, v6
	v_and_b32_e32 v48, 0x380038, v6
	v_lshrrev_b32_e32 v54, 6, v6
	v_lshrrev_b32_e32 v92, 14, v6
	v_pk_fma_f16 v11, v11, s36, v69 op_sel_hi:[1,0,0]
	v_and_b32_e32 v65, 0x70007, v1
	v_and_b32_e32 v70, 0x380038, v1
	v_lshrrev_b32_e32 v98, 6, v1
	v_lshrrev_b32_e32 v99, 13, v1
	v_or_b32_e32 v1, 0x64006400, v39
	v_pk_add_f16 v6, v80, v0 op_sel_hi:[0,1]
	v_or_b32_e32 v0, 0x64006400, v40
	s_waitcnt lgkmcnt(0)
	v_pk_fma_f16 v38, v8, v36, 0
	v_and_b32_e32 v68, 0x70007, v5
	v_and_b32_e32 v49, 0x380038, v5
	v_lshrrev_b32_e32 v55, 6, v5
	v_lshrrev_b32_e32 v93, 14, v5
	v_and_b32_e32 v74, 0x70007, v7
	v_and_b32_e32 v58, 0x380038, v7
	v_lshrrev_b32_e32 v61, 6, v7
	v_lshrrev_b32_e32 v91, 14, v7
	v_pk_fma_f16 v7, v1, s36, v82 op_sel_hi:[1,0,0]
	v_or_b32_e32 v1, 0x64006400, v41
	v_pk_add_f16 v5, v81, v0 op_sel_hi:[0,1]
	v_pk_fma_f16 v59, v11, v37, v38
	v_pk_fma_f16 v38, v4, v36, 0
	v_pk_fma_f16 v9, v1, s36, v101 op_sel_hi:[1,0,0]
	v_pk_fma_f16 v76, v10, v37, v38
	v_pk_fma_f16 v38, v6, v36, 0
	;; [unrolled: 1-line block ×4, first 2 shown]
	v_and_b32_e32 v36, 0x70007, v53
	v_pk_fma_f16 v79, v7, v37, v38
	v_or_b32_e32 v36, 0x64006400, v36
	v_and_b32_e32 v37, 0x380038, v53
	v_and_b32_e32 v72, 0x70007, v2
	;; [unrolled: 1-line block ×3, first 2 shown]
	v_lshrrev_b32_e32 v96, 6, v2
	v_lshrrev_b32_e32 v97, 13, v2
	v_and_b32_e32 v75, 0x70007, v3
	v_and_b32_e32 v77, 0x380038, v3
	v_lshrrev_b32_e32 v94, 6, v3
	v_lshrrev_b32_e32 v95, 13, v3
	ds_read2_b32 v[46:47], v60 offset0:2 offset1:3
	ds_read2_b32 v[2:3], v60 offset0:4 offset1:5
	;; [unrolled: 1-line block ×3, first 2 shown]
	v_or_b32_e32 v37, 0x64006400, v37
	v_pk_add_f16 v51, v84, v36 op_sel_hi:[0,1]
	v_and_b32_e32 v36, 0x70007, v63
	v_pk_fma_f16 v50, v37, s36, v69 op_sel_hi:[1,0,0]
	v_or_b32_e32 v36, 0x64006400, v36
	v_and_b32_e32 v37, 0x380038, v63
	v_or_b32_e32 v37, 0x64006400, v37
	v_pk_add_f16 v40, v83, v36 op_sel_hi:[0,1]
	v_and_b32_e32 v36, 0x70007, v66
	v_pk_fma_f16 v41, v37, s36, v78 op_sel_hi:[1,0,0]
	v_or_b32_e32 v36, 0x64006400, v36
	v_and_b32_e32 v37, 0x380038, v66
	s_waitcnt lgkmcnt(2)
	v_pk_fma_f16 v59, v51, v46, v59
	v_or_b32_e32 v37, 0x64006400, v37
	v_pk_add_f16 v38, v80, v36 op_sel_hi:[0,1]
	v_and_b32_e32 v36, 0x70007, v67
	v_pk_fma_f16 v103, v50, v47, v59
	v_pk_fma_f16 v59, v40, v46, v76
	v_and_b32_e32 v42, 0x1c001c0, v53
	v_pk_fma_f16 v39, v37, s36, v82 op_sel_hi:[1,0,0]
	v_or_b32_e32 v36, 0x64006400, v36
	v_and_b32_e32 v37, 0x380038, v67
	v_pk_fma_f16 v76, v41, v47, v59
	v_pk_fma_f16 v59, v38, v46, v79
	v_or_b32_e32 v42, 0x64006400, v42
	v_or_b32_e32 v37, 0x64006400, v37
	v_pk_add_f16 v36, v81, v36 op_sel_hi:[0,1]
	v_pk_fma_f16 v79, v39, v47, v59
	v_pk_fma_f16 v59, v42, s37, v110 op_sel_hi:[1,0,0]
	v_and_b32_e32 v42, 0x1c001c0, v63
	v_pk_fma_f16 v37, v37, s36, v101 op_sel_hi:[1,0,0]
	v_pk_fma_f16 v46, v36, v46, v102
	v_or_b32_e32 v42, 0x64006400, v42
	v_pk_fma_f16 v102, v37, v47, v46
	v_pk_fma_f16 v46, v42, s37, v111 op_sel_hi:[1,0,0]
	v_and_b32_e32 v42, 0x1c001c0, v66
	v_or_b32_e32 v43, 0x64006400, v56
	v_or_b32_e32 v42, 0x64006400, v42
	v_pk_add_f16 v56, v84, v43 op_sel_hi:[0,1]
	v_or_b32_e32 v43, 0x64006400, v68
	v_pk_fma_f16 v44, v42, s37, v112 op_sel_hi:[1,0,0]
	v_and_b32_e32 v42, 0x1c001c0, v67
	v_pk_add_f16 v47, v83, v43 op_sel_hi:[0,1]
	v_or_b32_e32 v43, 0x64006400, v71
	v_or_b32_e32 v42, 0x64006400, v42
	s_waitcnt lgkmcnt(1)
	v_pk_fma_f16 v53, v59, v2, v103
	v_pk_add_f16 v45, v80, v43 op_sel_hi:[0,1]
	v_or_b32_e32 v43, 0x64006400, v74
	v_pk_fma_f16 v42, v42, s37, v113 op_sel_hi:[1,0,0]
	v_pk_fma_f16 v63, v56, v3, v53
	v_pk_fma_f16 v53, v46, v2, v76
	v_pk_add_f16 v43, v81, v43 op_sel_hi:[0,1]
	v_pk_fma_f16 v66, v47, v3, v53
	v_pk_fma_f16 v53, v44, v2, v79
	;; [unrolled: 1-line block ×5, first 2 shown]
	v_and_b32_e32 v3, 0x70007, v57
	v_or_b32_e32 v3, 0x64006400, v3
	v_pk_add_f16 v67, v84, v3 op_sel_hi:[0,1]
	v_and_b32_e32 v3, 0x70007, v55
	v_or_b32_e32 v2, 0x64006400, v52
	v_or_b32_e32 v3, 0x64006400, v3
	v_pk_fma_f16 v68, v2, s36, v69 op_sel_hi:[1,0,0]
	v_or_b32_e32 v2, 0x64006400, v49
	v_pk_add_f16 v53, v83, v3 op_sel_hi:[0,1]
	v_and_b32_e32 v3, 0x70007, v54
	v_pk_fma_f16 v52, v2, s36, v78 op_sel_hi:[1,0,0]
	v_or_b32_e32 v2, 0x64006400, v48
	v_or_b32_e32 v3, 0x64006400, v3
	v_pk_fma_f16 v48, v2, s36, v82 op_sel_hi:[1,0,0]
	v_pk_add_f16 v49, v80, v3 op_sel_hi:[0,1]
	v_or_b32_e32 v2, 0x64006400, v58
	v_and_b32_e32 v3, 0x70007, v61
	s_waitcnt lgkmcnt(0)
	v_pk_fma_f16 v58, v68, v0, v63
	v_or_b32_e32 v3, 0x64006400, v3
	v_pk_fma_f16 v2, v2, s36, v101 op_sel_hi:[1,0,0]
	v_pk_fma_f16 v76, v67, v1, v58
	v_pk_fma_f16 v58, v52, v0, v66
	v_pk_add_f16 v3, v81, v3 op_sel_hi:[0,1]
	v_pk_fma_f16 v79, v53, v1, v58
	v_pk_fma_f16 v58, v48, v0, v71
	;; [unrolled: 1-line block ×5, first 2 shown]
	v_and_b32_e32 v0, 0x380038, v57
	v_and_b32_e32 v1, 0x1c001c0, v57
	v_or_b32_e32 v0, 0x64006400, v0
	v_or_b32_e32 v1, 0x64006400, v1
	ds_read2_b32 v[102:103], v60 offset0:8 offset1:9
	v_pk_fma_f16 v66, v0, s36, v69 op_sel_hi:[1,0,0]
	v_pk_fma_f16 v63, v1, s37, v110 op_sel_hi:[1,0,0]
	v_and_b32_e32 v0, 0x380038, v55
	v_and_b32_e32 v1, 0x1c001c0, v55
	v_or_b32_e32 v0, 0x64006400, v0
	v_or_b32_e32 v1, 0x64006400, v1
	v_pk_fma_f16 v57, v0, s36, v78 op_sel_hi:[1,0,0]
	v_pk_fma_f16 v58, v1, s37, v111 op_sel_hi:[1,0,0]
	v_and_b32_e32 v0, 0x380038, v54
	v_and_b32_e32 v1, 0x1c001c0, v54
	v_or_b32_e32 v0, 0x64006400, v0
	v_or_b32_e32 v1, 0x64006400, v1
	v_pk_fma_f16 v54, v0, s36, v82 op_sel_hi:[1,0,0]
	v_pk_fma_f16 v55, v1, s37, v112 op_sel_hi:[1,0,0]
	v_and_b32_e32 v0, 0x380038, v61
	v_and_b32_e32 v1, 0x1c001c0, v61
	s_waitcnt lgkmcnt(0)
	v_pk_fma_f16 v61, v66, v102, v76
	v_or_b32_e32 v0, 0x64006400, v0
	v_pk_fma_f16 v114, v63, v103, v61
	v_pk_fma_f16 v61, v57, v102, v79
	v_or_b32_e32 v1, 0x64006400, v1
	v_pk_fma_f16 v0, v0, s36, v101 op_sel_hi:[1,0,0]
	v_pk_fma_f16 v79, v58, v103, v61
	v_pk_fma_f16 v61, v54, v102, v71
	v_pk_fma_f16 v1, v1, s37, v113 op_sel_hi:[1,0,0]
	ds_read2_b32 v[104:105], v60 offset0:10 offset1:11
	ds_read2_b32 v[106:107], v60 offset0:12 offset1:13
	;; [unrolled: 1-line block ×3, first 2 shown]
	v_pk_fma_f16 v115, v55, v103, v61
	v_pk_fma_f16 v61, v0, v102, v74
	;; [unrolled: 1-line block ×3, first 2 shown]
	v_or_b32_e32 v61, 0x64006400, v62
	v_or_b32_e32 v62, 0x64006400, v64
	v_pk_add_f16 v76, v84, v61 op_sel_hi:[0,1]
	v_or_b32_e32 v61, 0x64006400, v65
	v_pk_fma_f16 v74, v62, s36, v69 op_sel_hi:[1,0,0]
	v_or_b32_e32 v62, 0x64006400, v70
	v_pk_add_f16 v70, v83, v61 op_sel_hi:[0,1]
	v_or_b32_e32 v61, 0x64006400, v72
	s_waitcnt lgkmcnt(2)
	v_pk_fma_f16 v72, v76, v104, v114
	v_pk_fma_f16 v71, v62, s36, v78 op_sel_hi:[1,0,0]
	v_or_b32_e32 v62, 0x64006400, v73
	v_pk_add_f16 v64, v80, v61 op_sel_hi:[0,1]
	v_or_b32_e32 v61, 0x64006400, v75
	v_pk_fma_f16 v103, v74, v105, v72
	v_pk_fma_f16 v72, v70, v104, v79
	v_pk_fma_f16 v65, v62, s36, v82 op_sel_hi:[1,0,0]
	v_or_b32_e32 v62, 0x64006400, v77
	v_pk_add_f16 v61, v81, v61 op_sel_hi:[0,1]
	v_pk_fma_f16 v114, v71, v105, v72
	v_pk_fma_f16 v72, v64, v104, v115
	v_pk_fma_f16 v62, v62, s36, v101 op_sel_hi:[1,0,0]
	v_pk_fma_f16 v115, v65, v105, v72
	v_pk_fma_f16 v72, v61, v104, v102
	;; [unrolled: 1-line block ×3, first 2 shown]
	v_and_b32_e32 v72, 0x380038, v88
	v_or_b32_e32 v72, 0x64006400, v72
	v_pk_fma_f16 v79, v72, s36, v69 op_sel_hi:[1,0,0]
	v_and_b32_e32 v69, 0x380038, v98
	v_or_b32_e32 v69, 0x64006400, v69
	v_and_b32_e32 v87, 0x20002, v87
	v_pk_fma_f16 v77, v69, s36, v78 op_sel_hi:[1,0,0]
	v_and_b32_e32 v69, 0x380038, v96
	v_and_b32_e32 v73, 0x70007, v88
	v_and_or_b32 v86, v86, s35, v87
	v_and_b32_e32 v87, 0x40004, v100
	v_or_b32_e32 v69, 0x64006400, v69
	v_or_b32_e32 v73, 0x64006400, v73
	v_or3_b32 v86, v86, v87, s34
	v_pk_fma_f16 v72, v69, s36, v82 op_sel_hi:[1,0,0]
	v_pk_add_f16 v82, v84, v73 op_sel_hi:[0,1]
	v_and_b32_e32 v87, 0x1c001c0, v88
	v_pk_add_f16 v88, v84, v86 op_sel_hi:[0,1]
	v_and_b32_e32 v84, 0x20002, v93
	v_and_b32_e32 v73, 0x70007, v98
	v_and_or_b32 v84, v85, s35, v84
	v_and_b32_e32 v85, 0x40004, v99
	v_or_b32_e32 v73, 0x64006400, v73
	v_or3_b32 v84, v84, v85, s34
	v_pk_add_f16 v78, v83, v73 op_sel_hi:[0,1]
	v_pk_add_f16 v86, v83, v84 op_sel_hi:[0,1]
	v_and_b32_e32 v83, 0x20002, v92
	v_and_b32_e32 v73, 0x70007, v96
	v_and_or_b32 v83, v90, s35, v83
	v_and_b32_e32 v84, 0x40004, v97
	v_or_b32_e32 v73, 0x64006400, v73
	v_or3_b32 v84, v83, v84, s34
	v_pk_add_f16 v75, v80, v73 op_sel_hi:[0,1]
	v_pk_add_f16 v84, v80, v84 op_sel_hi:[0,1]
	v_and_b32_e32 v80, 0x20002, v91
	v_and_or_b32 v80, v89, s35, v80
	v_and_b32_e32 v89, 0x40004, v95
	v_and_b32_e32 v69, 0x380038, v94
	;; [unrolled: 1-line block ×3, first 2 shown]
	v_or3_b32 v89, v80, v89, s34
	v_and_b32_e32 v80, 0x1c001c0, v94
	ds_read2_b32 v[94:95], v60 offset0:64 offset1:65
	v_or_b32_e32 v69, 0x64006400, v69
	v_or_b32_e32 v73, 0x64006400, v73
	v_pk_fma_f16 v69, v69, s36, v101 op_sel_hi:[1,0,0]
	v_pk_add_f16 v73, v81, v73 op_sel_hi:[0,1]
	s_waitcnt lgkmcnt(2)
	v_pk_fma_f16 v101, v82, v106, v103
	v_or_b32_e32 v87, 0x64006400, v87
	v_pk_fma_f16 v101, v79, v107, v101
	v_pk_fma_f16 v102, v73, v106, v102
	v_pk_fma_f16 v87, v87, s37, v110 op_sel_hi:[1,0,0]
	v_and_b32_e32 v85, 0x1c001c0, v98
	v_or_b32_e32 v80, 0x64006400, v80
	v_pk_fma_f16 v103, v78, v106, v114
	v_pk_fma_f16 v102, v69, v107, v102
	v_or_b32_e32 v85, 0x64006400, v85
	v_and_b32_e32 v83, 0x1c001c0, v96
	v_pk_fma_f16 v80, v80, s37, v113 op_sel_hi:[1,0,0]
	v_pk_add_f16 v81, v81, v89 op_sel_hi:[0,1]
	s_waitcnt lgkmcnt(1)
	v_pk_fma_f16 v89, v87, v108, v101
	ds_read2_b32 v[96:97], v60 offset0:66 offset1:67
	ds_read2_b32 v[98:99], v60 offset0:68 offset1:69
	;; [unrolled: 1-line block ×3, first 2 shown]
	v_pk_fma_f16 v103, v77, v107, v103
	v_pk_fma_f16 v85, v85, s37, v111 op_sel_hi:[1,0,0]
	v_pk_fma_f16 v92, v80, v108, v102
	s_waitcnt lgkmcnt(3)
	v_pk_fma_f16 v102, v4, v94, 0
	v_pk_fma_f16 v90, v85, v108, v103
	;; [unrolled: 1-line block ×9, first 2 shown]
	s_waitcnt lgkmcnt(2)
	v_pk_fma_f16 v95, v40, v96, v102
	v_pk_fma_f16 v95, v41, v97, v95
	;; [unrolled: 1-line block ×5, first 2 shown]
	s_waitcnt lgkmcnt(1)
	v_pk_fma_f16 v95, v46, v98, v95
	v_pk_fma_f16 v93, v51, v96, v93
	;; [unrolled: 1-line block ×7, first 2 shown]
	s_waitcnt lgkmcnt(0)
	v_pk_fma_f16 v95, v52, v100, v95
	v_pk_fma_f16 v94, v43, v99, v94
	;; [unrolled: 1-line block ×7, first 2 shown]
	ds_read2_b32 v[94:95], v60 offset0:72 offset1:73
	v_pk_fma_f16 v93, v59, v98, v93
	v_pk_fma_f16 v104, v75, v106, v115
	v_or_b32_e32 v83, 0x64006400, v83
	v_pk_fma_f16 v93, v56, v99, v93
	v_pk_fma_f16 v104, v72, v107, v104
	v_pk_fma_f16 v83, v83, s37, v112 op_sel_hi:[1,0,0]
	v_pk_fma_f16 v93, v68, v100, v93
	v_pk_fma_f16 v91, v86, v109, v90
	;; [unrolled: 1-line block ×5, first 2 shown]
	ds_read2_b32 v[96:97], v60 offset0:74 offset1:75
	ds_read2_b32 v[98:99], v60 offset0:76 offset1:77
	;; [unrolled: 1-line block ×3, first 2 shown]
	s_waitcnt lgkmcnt(3)
	v_pk_fma_f16 v93, v66, v94, v93
	v_pk_fma_f16 v102, v57, v94, v102
	v_pk_fma_f16 v103, v54, v94, v103
	v_pk_fma_f16 v94, v0, v94, v104
	v_pk_fma_f16 v93, v63, v95, v93
	v_pk_fma_f16 v102, v58, v95, v102
	v_pk_fma_f16 v103, v55, v95, v103
	v_pk_fma_f16 v94, v1, v95, v94
	s_waitcnt lgkmcnt(2)
	v_pk_fma_f16 v93, v76, v96, v93
	v_pk_fma_f16 v95, v70, v96, v102
	v_pk_fma_f16 v102, v64, v96, v103
	v_pk_fma_f16 v94, v61, v96, v94
	v_pk_fma_f16 v93, v74, v97, v93
	v_pk_fma_f16 v95, v71, v97, v95
	v_pk_fma_f16 v102, v65, v97, v102
	v_pk_fma_f16 v94, v62, v97, v94
	;; [unrolled: 9-line block ×3, first 2 shown]
	ds_read2_b32 v[98:99], v60 offset0:128 offset1:129
	s_waitcnt lgkmcnt(1)
	v_pk_fma_f16 v94, v85, v100, v95
	v_pk_fma_f16 v93, v87, v100, v93
	;; [unrolled: 1-line block ×8, first 2 shown]
	ds_read2_b32 v[100:101], v60 offset0:130 offset1:131
	ds_read2_b32 v[102:103], v60 offset0:132 offset1:133
	ds_read2_b32 v[104:105], v60 offset0:134 offset1:135
	s_waitcnt lgkmcnt(3)
	v_pk_fma_f16 v106, v4, v98, 0
	v_pk_fma_f16 v97, v8, v98, 0
	;; [unrolled: 1-line block ×8, first 2 shown]
	s_waitcnt lgkmcnt(2)
	v_pk_fma_f16 v99, v40, v100, v106
	v_pk_fma_f16 v99, v41, v101, v99
	;; [unrolled: 1-line block ×5, first 2 shown]
	s_waitcnt lgkmcnt(1)
	v_pk_fma_f16 v99, v46, v102, v99
	v_pk_fma_f16 v97, v51, v100, v97
	;; [unrolled: 1-line block ×7, first 2 shown]
	s_waitcnt lgkmcnt(0)
	v_pk_fma_f16 v99, v52, v104, v99
	v_pk_fma_f16 v98, v43, v103, v98
	;; [unrolled: 1-line block ×7, first 2 shown]
	ds_read2_b32 v[98:99], v60 offset0:136 offset1:137
	v_pk_fma_f16 v97, v59, v102, v97
	v_pk_fma_f16 v97, v56, v103, v97
	;; [unrolled: 1-line block ×5, first 2 shown]
	ds_read2_b32 v[100:101], v60 offset0:138 offset1:139
	ds_read2_b32 v[102:103], v60 offset0:140 offset1:141
	;; [unrolled: 1-line block ×3, first 2 shown]
	s_waitcnt lgkmcnt(3)
	v_pk_fma_f16 v106, v57, v98, v106
	v_pk_fma_f16 v97, v66, v98, v97
	;; [unrolled: 1-line block ×8, first 2 shown]
	s_waitcnt lgkmcnt(2)
	v_pk_fma_f16 v99, v70, v100, v106
	v_pk_fma_f16 v99, v71, v101, v99
	;; [unrolled: 1-line block ×5, first 2 shown]
	s_waitcnt lgkmcnt(1)
	v_pk_fma_f16 v99, v78, v102, v99
	v_pk_fma_f16 v97, v76, v100, v97
	v_pk_fma_f16 v98, v62, v101, v98
	v_pk_fma_f16 v99, v77, v103, v99
	v_pk_fma_f16 v100, v75, v102, v106
	v_pk_fma_f16 v100, v72, v103, v100
	v_pk_fma_f16 v98, v73, v102, v98
	s_waitcnt lgkmcnt(0)
	v_pk_fma_f16 v99, v85, v104, v99
	v_pk_fma_f16 v98, v69, v103, v98
	;; [unrolled: 1-line block ×7, first 2 shown]
	ds_read2_b32 v[98:99], v60 offset0:192 offset1:193
	v_pk_fma_f16 v97, v82, v102, v97
	v_pk_fma_f16 v97, v79, v103, v97
	;; [unrolled: 1-line block ×5, first 2 shown]
	ds_read2_b32 v[100:101], v60 offset0:194 offset1:195
	ds_read2_b32 v[102:103], v60 offset0:196 offset1:197
	;; [unrolled: 1-line block ×3, first 2 shown]
	v_pk_fma_f16 v89, v88, v109, v89
	v_pk_fma_f16 v90, v84, v109, v90
	;; [unrolled: 1-line block ×3, first 2 shown]
	s_waitcnt lgkmcnt(3)
	v_pk_fma_f16 v109, v8, v98, 0
	v_pk_fma_f16 v109, v11, v99, v109
	;; [unrolled: 1-line block ×8, first 2 shown]
	s_waitcnt lgkmcnt(2)
	v_pk_fma_f16 v99, v51, v100, v109
	v_pk_fma_f16 v99, v50, v101, v99
	;; [unrolled: 1-line block ×5, first 2 shown]
	s_waitcnt lgkmcnt(1)
	v_pk_fma_f16 v99, v59, v102, v99
	v_pk_fma_f16 v110, v39, v101, v110
	;; [unrolled: 1-line block ×8, first 2 shown]
	s_waitcnt lgkmcnt(0)
	v_pk_fma_f16 v99, v68, v104, v99
	v_pk_fma_f16 v101, v45, v103, v101
	v_pk_fma_f16 v98, v42, v102, v98
	v_pk_fma_f16 v109, v67, v105, v99
	v_pk_fma_f16 v99, v52, v104, v100
	v_pk_fma_f16 v98, v43, v103, v98
	v_pk_fma_f16 v110, v53, v105, v99
	v_pk_fma_f16 v99, v48, v104, v101
	v_pk_fma_f16 v111, v49, v105, v99
	v_pk_fma_f16 v100, v2, v104, v98
	ds_read2_b32 v[98:99], v60 offset0:200 offset1:201
	v_pk_fma_f16 v112, v3, v105, v100
	ds_read2_b32 v[100:101], v60 offset0:202 offset1:203
	ds_read2_b32 v[102:103], v60 offset0:204 offset1:205
	;; [unrolled: 1-line block ×3, first 2 shown]
	s_waitcnt lgkmcnt(3)
	v_pk_fma_f16 v60, v66, v98, v109
	v_pk_fma_f16 v109, v57, v98, v110
	;; [unrolled: 1-line block ×8, first 2 shown]
	s_waitcnt lgkmcnt(2)
	v_pk_fma_f16 v60, v76, v100, v60
	v_pk_fma_f16 v99, v70, v100, v109
	;; [unrolled: 1-line block ×8, first 2 shown]
	v_pack_b32_f16 v101, v89, v91
	v_perm_b32 v89, v91, v89, s38
	v_pk_add_f16 v89, v101, v89
	v_pk_fma_f16 v28, v89, v18, v28
	v_pack_b32_f16 v89, v90, v92
	v_perm_b32 v90, v92, v90, s38
	v_pk_add_f16 v89, v89, v90
	v_pk_fma_f16 v27, v89, v19, v27
	;; [unrolled: 4-line block ×3, first 2 shown]
	v_pack_b32_f16 v89, v94, v96
	v_perm_b32 v90, v96, v94, s38
	v_pk_add_f16 v89, v89, v90
	s_waitcnt lgkmcnt(1)
	v_pk_fma_f16 v60, v82, v102, v60
	v_pk_fma_f16 v99, v78, v102, v99
	;; [unrolled: 1-line block ×3, first 2 shown]
	v_pack_b32_f16 v89, v97, v106
	v_perm_b32 v90, v106, v97, s38
	v_pk_fma_f16 v60, v79, v103, v60
	v_pk_fma_f16 v99, v77, v103, v99
	v_pk_add_f16 v89, v89, v90
	v_pk_fma_f16 v100, v75, v102, v109
	v_pk_fma_f16 v98, v73, v102, v98
	s_waitcnt lgkmcnt(0)
	v_pk_fma_f16 v60, v87, v104, v60
	v_pk_fma_f16 v99, v85, v104, v99
	;; [unrolled: 1-line block ×3, first 2 shown]
	v_pack_b32_f16 v89, v107, v108
	v_perm_b32 v90, v108, v107, s38
	v_pk_fma_f16 v100, v72, v103, v100
	v_pk_fma_f16 v98, v69, v103, v98
	;; [unrolled: 1-line block ×4, first 2 shown]
	v_pk_add_f16 v89, v89, v90
	v_pk_fma_f16 v100, v83, v104, v100
	v_pk_fma_f16 v98, v80, v104, v98
	;; [unrolled: 1-line block ×3, first 2 shown]
	v_pack_b32_f16 v89, v60, v99
	v_perm_b32 v60, v99, v60, s38
	v_pk_fma_f16 v100, v84, v105, v100
	v_pk_fma_f16 v98, v81, v105, v98
	v_pk_add_f16 v60, v89, v60
	v_pk_fma_f16 v21, v60, v18, v21
	v_pack_b32_f16 v60, v100, v98
	v_perm_b32 v89, v98, v100, s38
	v_pk_add_f16 v60, v60, v89
	v_pk_fma_f16 v20, v60, v19, v20
	v_mov_b32_e32 v60, s6
	ds_read2_b32 v[90:91], v60 offset1:1
	v_mov_b32_e32 v89, s7
	v_mov_b32_e32 v94, s10
	;; [unrolled: 1-line block ×3, first 2 shown]
	ds_read2_b32 v[92:93], v89 offset1:1
	ds_read2_b32 v[94:95], v94 offset1:1
	ds_read2_b32 v[96:97], v60 offset1:1
	s_waitcnt lgkmcnt(3)
	v_pk_fma_f16 v8, v8, v90, 0
	v_pk_fma_f16 v4, v4, v90, 0
	v_pk_fma_f16 v8, v11, v91, v8
	s_add_i32 s6, s21, 0x420
	v_pk_fma_f16 v4, v10, v91, v4
	s_waitcnt lgkmcnt(2)
	v_pk_fma_f16 v8, v51, v92, v8
	v_mov_b32_e32 v11, s6
	v_pk_fma_f16 v4, v40, v92, v4
	v_pk_fma_f16 v8, v50, v93, v8
	ds_read2_b32 v[50:51], v11 offset1:1
	v_pk_fma_f16 v4, v41, v93, v4
	s_waitcnt lgkmcnt(2)
	v_pk_fma_f16 v8, v59, v94, v8
	v_pk_fma_f16 v4, v46, v94, v4
	;; [unrolled: 1-line block ×3, first 2 shown]
	s_add_i32 s7, s21, 0x428
	v_pk_fma_f16 v4, v47, v95, v4
	s_waitcnt lgkmcnt(1)
	v_pk_fma_f16 v8, v68, v96, v8
	s_add_i32 s10, s21, 0x430
	s_add_i32 s11, s21, 0x438
	v_mov_b32_e32 v56, s7
	v_pk_fma_f16 v4, v52, v96, v4
	v_pk_fma_f16 v8, v67, v97, v8
	v_mov_b32_e32 v59, s10
	v_mov_b32_e32 v11, s11
	ds_read2_b32 v[98:99], v56 offset1:1
	ds_read2_b32 v[100:101], v59 offset1:1
	;; [unrolled: 1-line block ×3, first 2 shown]
	v_pk_fma_f16 v4, v53, v97, v4
	s_waitcnt lgkmcnt(3)
	v_pk_fma_f16 v8, v66, v50, v8
	v_pk_fma_f16 v4, v57, v50, v4
	v_pk_fma_f16 v8, v63, v51, v8
	v_pk_fma_f16 v4, v58, v51, v4
	s_waitcnt lgkmcnt(2)
	v_pk_fma_f16 v8, v76, v98, v8
	v_pk_fma_f16 v4, v70, v98, v4
	v_pk_fma_f16 v8, v74, v99, v8
	;; [unrolled: 5-line block ×4, first 2 shown]
	v_pk_fma_f16 v4, v86, v103, v4
	v_pack_b32_f16 v10, v8, v4
	v_perm_b32 v4, v4, v8, s38
	v_pk_add_f16 v4, v10, v4
	v_pk_fma_f16 v15, v4, v18, v15
	v_pk_fma_f16 v4, v6, v90, 0
	;; [unrolled: 1-line block ×33, first 2 shown]
	v_pack_b32_f16 v1, v4, v0
	v_perm_b32 v0, v0, v4, s38
	v_pk_add_f16 v0, v1, v0
	v_pk_fma_f16 v13, v0, v19, v13
	v_mov_b32_e32 v0, s30
	s_add_i32 s21, s21, 64
	v_add_co_u32_e64 v16, s[6:7], s31, v16
	s_cmp_ge_i32 s25, s26
	v_addc_co_u32_e64 v17, s[6:7], v17, v0, s[6:7]
	s_cbranch_scc1 .LBB32_50
.LBB32_33:                              ; =>This Inner Loop Header: Depth=1
	s_cmp_lg_u32 s25, s29
	s_cbranch_scc1 .LBB32_32
; %bb.34:                               ;   in Loop: Header=BB32_33 Depth=1
	s_add_i32 s28, s28, 1
	s_mul_i32 s39, s28, s20
	s_ashr_i32 s6, s39, 31
	s_lshr_b32 s6, s6, 27
	s_add_i32 s6, s39, s6
	s_ashr_i32 s6, s6, 5
	v_mad_u64_u32 v[0:1], s[6:7], s6, 3, v[14:15]
	v_ashrrev_i32_e32 v1, 31, v0
	v_lshlrev_b64 v[0:1], 2, v[0:1]
	v_mov_b32_e32 v2, s15
	v_add_co_u32_e64 v0, s[6:7], s14, v0
	v_addc_co_u32_e64 v1, s[6:7], v2, v1, s[6:7]
	global_load_dword v3, v[0:1], off
                                        ; implicit-def: $vgpr2
	s_and_saveexec_b64 s[6:7], vcc
	s_xor_b64 s[6:7], exec, s[6:7]
	s_cbranch_execz .LBB32_48
; %bb.35:                               ;   in Loop: Header=BB32_33 Depth=1
                                        ; implicit-def: $vgpr2
	s_and_saveexec_b64 s[10:11], s[0:1]
	s_xor_b64 s[10:11], exec, s[10:11]
	s_cbranch_execz .LBB32_45
; %bb.36:                               ;   in Loop: Header=BB32_33 Depth=1
                                        ; implicit-def: $vgpr2
	s_and_saveexec_b64 s[12:13], s[2:3]
	;; [unrolled: 5-line block ×3, first 2 shown]
	s_xor_b64 s[22:23], exec, s[22:23]
	s_cbranch_execz .LBB32_39
; %bb.38:                               ;   in Loop: Header=BB32_33 Depth=1
	s_waitcnt vmcnt(0)
	v_lshrrev_b32_e32 v2, v30, v3
                                        ; implicit-def: $vgpr0_vgpr1
                                        ; implicit-def: $vgpr3
.LBB32_39:                              ;   in Loop: Header=BB32_33 Depth=1
	s_andn2_saveexec_b64 s[22:23], s[22:23]
	s_cbranch_execz .LBB32_41
; %bb.40:                               ;   in Loop: Header=BB32_33 Depth=1
	global_load_dword v0, v[0:1], off offset:4
	s_waitcnt vmcnt(0)
	v_alignbit_b32 v0, v0, v3, 28
	v_and_b32_e32 v2, 0xfff, v0
.LBB32_41:                              ;   in Loop: Header=BB32_33 Depth=1
	s_or_b64 exec, exec, s[22:23]
                                        ; implicit-def: $vgpr3
.LBB32_42:                              ;   in Loop: Header=BB32_33 Depth=1
	s_andn2_saveexec_b64 s[12:13], s[12:13]
	s_cbranch_execz .LBB32_44
; %bb.43:                               ;   in Loop: Header=BB32_33 Depth=1
	s_waitcnt vmcnt(0)
	v_lshrrev_b32_e32 v2, v31, v3
.LBB32_44:                              ;   in Loop: Header=BB32_33 Depth=1
	s_or_b64 exec, exec, s[12:13]
                                        ; implicit-def: $vgpr0_vgpr1
                                        ; implicit-def: $vgpr3
.LBB32_45:                              ;   in Loop: Header=BB32_33 Depth=1
	s_andn2_saveexec_b64 s[10:11], s[10:11]
	s_cbranch_execz .LBB32_47
; %bb.46:                               ;   in Loop: Header=BB32_33 Depth=1
	global_load_dword v0, v[0:1], off offset:4
	s_waitcnt vmcnt(0)
	v_perm_b32 v0, v3, v0, s33
	v_and_b32_e32 v2, 0xfff, v0
.LBB32_47:                              ;   in Loop: Header=BB32_33 Depth=1
	s_or_b64 exec, exec, s[10:11]
                                        ; implicit-def: $vgpr3
.LBB32_48:                              ;   in Loop: Header=BB32_33 Depth=1
	s_andn2_saveexec_b64 s[6:7], s[6:7]
	s_cbranch_execz .LBB32_31
; %bb.49:                               ;   in Loop: Header=BB32_33 Depth=1
	s_waitcnt vmcnt(0)
	v_lshrrev_b32_e32 v2, v24, v3
	s_branch .LBB32_31
.LBB32_50:
	s_mul_i32 s24, s24, s20
	v_add_u32_e32 v0, s24, v12
	v_ashrrev_i32_e32 v1, 31, v0
	v_lshlrev_b64 v[2:3], 1, v[0:1]
	v_mov_b32_e32 v1, s19
	v_add_co_u32_e32 v2, vcc, s18, v2
	v_addc_co_u32_e32 v3, vcc, v1, v3, vcc
	global_load_dword v5, v[2:3], off
	s_mov_b64 s[0:1], 0
.LBB32_51:                              ; =>This Inner Loop Header: Depth=1
	s_waitcnt vmcnt(0)
	v_pk_add_f16 v4, v28, v5
	global_atomic_cmpswap v1, v[2:3], v[4:5], off glc
	s_waitcnt vmcnt(0)
	v_cmp_eq_u32_e32 vcc, v5, v1
	s_or_b64 s[0:1], vcc, s[0:1]
	v_mov_b32_e32 v5, v1
	s_andn2_b64 exec, exec, s[0:1]
	s_cbranch_execnz .LBB32_51
; %bb.52:
	s_or_b64 exec, exec, s[0:1]
	global_load_dword v5, v[2:3], off offset:4
	s_mov_b64 s[0:1], 0
.LBB32_53:                              ; =>This Inner Loop Header: Depth=1
	s_waitcnt vmcnt(0)
	v_pk_add_f16 v4, v27, v5
	global_atomic_cmpswap v1, v[2:3], v[4:5], off offset:4 glc
	s_waitcnt vmcnt(0)
	v_cmp_eq_u32_e32 vcc, v5, v1
	s_or_b64 s[0:1], vcc, s[0:1]
	v_mov_b32_e32 v5, v1
	s_andn2_b64 exec, exec, s[0:1]
	s_cbranch_execnz .LBB32_53
; %bb.54:
	s_or_b64 exec, exec, s[0:1]
	v_add_u32_e32 v0, s20, v0
	v_ashrrev_i32_e32 v1, 31, v0
	v_lshlrev_b64 v[2:3], 1, v[0:1]
	v_mov_b32_e32 v1, s19
	v_add_co_u32_e32 v2, vcc, s18, v2
	v_addc_co_u32_e32 v3, vcc, v1, v3, vcc
	global_load_dword v5, v[2:3], off
	s_mov_b64 s[0:1], 0
.LBB32_55:                              ; =>This Inner Loop Header: Depth=1
	s_waitcnt vmcnt(0)
	v_pk_add_f16 v4, v26, v5
	global_atomic_cmpswap v1, v[2:3], v[4:5], off glc
	s_waitcnt vmcnt(0)
	v_cmp_eq_u32_e32 vcc, v5, v1
	s_or_b64 s[0:1], vcc, s[0:1]
	v_mov_b32_e32 v5, v1
	s_andn2_b64 exec, exec, s[0:1]
	s_cbranch_execnz .LBB32_55
; %bb.56:
	s_or_b64 exec, exec, s[0:1]
	global_load_dword v5, v[2:3], off offset:4
	s_mov_b64 s[0:1], 0
.LBB32_57:                              ; =>This Inner Loop Header: Depth=1
	s_waitcnt vmcnt(0)
	v_pk_add_f16 v4, v25, v5
	global_atomic_cmpswap v1, v[2:3], v[4:5], off offset:4 glc
	s_waitcnt vmcnt(0)
	v_cmp_eq_u32_e32 vcc, v5, v1
	s_or_b64 s[0:1], vcc, s[0:1]
	v_mov_b32_e32 v5, v1
	s_andn2_b64 exec, exec, s[0:1]
	s_cbranch_execnz .LBB32_57
; %bb.58:
	s_or_b64 exec, exec, s[0:1]
	;; [unrolled: 34-line block ×4, first 2 shown]
	v_add_u32_e32 v0, s20, v0
	v_ashrrev_i32_e32 v1, 31, v0
	v_lshlrev_b64 v[0:1], 1, v[0:1]
	v_mov_b32_e32 v2, s19
	v_add_co_u32_e32 v0, vcc, s18, v0
	v_addc_co_u32_e32 v1, vcc, v2, v1, vcc
	global_load_dword v3, v[0:1], off
	s_mov_b64 s[0:1], 0
.LBB32_67:                              ; =>This Inner Loop Header: Depth=1
	s_waitcnt vmcnt(0)
	v_pk_add_f16 v2, v15, v3
	global_atomic_cmpswap v2, v[0:1], v[2:3], off glc
	s_waitcnt vmcnt(0)
	v_cmp_eq_u32_e32 vcc, v3, v2
	s_or_b64 s[0:1], vcc, s[0:1]
	v_mov_b32_e32 v3, v2
	s_andn2_b64 exec, exec, s[0:1]
	s_cbranch_execnz .LBB32_67
; %bb.68:
	s_or_b64 exec, exec, s[0:1]
	global_load_dword v3, v[0:1], off offset:4
	s_mov_b64 s[0:1], 0
.LBB32_69:                              ; =>This Inner Loop Header: Depth=1
	s_waitcnt vmcnt(0)
	v_pk_add_f16 v2, v13, v3
	global_atomic_cmpswap v2, v[0:1], v[2:3], off offset:4 glc
	s_waitcnt vmcnt(0)
	v_cmp_eq_u32_e32 vcc, v3, v2
	s_or_b64 s[0:1], vcc, s[0:1]
	v_mov_b32_e32 v3, v2
	s_andn2_b64 exec, exec, s[0:1]
	s_cbranch_execnz .LBB32_69
.LBB32_70:
	s_endpgm
	.section	.rodata,"a",@progbits
	.p2align	6, 0x0
	.amdhsa_kernel _ZN4vllm4gptq33gemm_half_q_half_gptq_3bit_kernelILb1ELi5EEEvPK6__halfPKjS6_S4_PS2_iiiibPKi
		.amdhsa_group_segment_fixed_size 1280
		.amdhsa_private_segment_fixed_size 0
		.amdhsa_kernarg_size 72
		.amdhsa_user_sgpr_count 6
		.amdhsa_user_sgpr_private_segment_buffer 1
		.amdhsa_user_sgpr_dispatch_ptr 0
		.amdhsa_user_sgpr_queue_ptr 0
		.amdhsa_user_sgpr_kernarg_segment_ptr 1
		.amdhsa_user_sgpr_dispatch_id 0
		.amdhsa_user_sgpr_flat_scratch_init 0
		.amdhsa_user_sgpr_kernarg_preload_length 0
		.amdhsa_user_sgpr_kernarg_preload_offset 0
		.amdhsa_user_sgpr_private_segment_size 0
		.amdhsa_uses_dynamic_stack 0
		.amdhsa_system_sgpr_private_segment_wavefront_offset 0
		.amdhsa_system_sgpr_workgroup_id_x 1
		.amdhsa_system_sgpr_workgroup_id_y 1
		.amdhsa_system_sgpr_workgroup_id_z 1
		.amdhsa_system_sgpr_workgroup_info 0
		.amdhsa_system_vgpr_workitem_id 0
		.amdhsa_next_free_vgpr 116
		.amdhsa_next_free_sgpr 40
		.amdhsa_accum_offset 116
		.amdhsa_reserve_vcc 1
		.amdhsa_reserve_flat_scratch 0
		.amdhsa_float_round_mode_32 0
		.amdhsa_float_round_mode_16_64 0
		.amdhsa_float_denorm_mode_32 3
		.amdhsa_float_denorm_mode_16_64 3
		.amdhsa_dx10_clamp 1
		.amdhsa_ieee_mode 1
		.amdhsa_fp16_overflow 0
		.amdhsa_tg_split 0
		.amdhsa_exception_fp_ieee_invalid_op 0
		.amdhsa_exception_fp_denorm_src 0
		.amdhsa_exception_fp_ieee_div_zero 0
		.amdhsa_exception_fp_ieee_overflow 0
		.amdhsa_exception_fp_ieee_underflow 0
		.amdhsa_exception_fp_ieee_inexact 0
		.amdhsa_exception_int_div_zero 0
	.end_amdhsa_kernel
	.section	.text._ZN4vllm4gptq33gemm_half_q_half_gptq_3bit_kernelILb1ELi5EEEvPK6__halfPKjS6_S4_PS2_iiiibPKi,"axG",@progbits,_ZN4vllm4gptq33gemm_half_q_half_gptq_3bit_kernelILb1ELi5EEEvPK6__halfPKjS6_S4_PS2_iiiibPKi,comdat
.Lfunc_end32:
	.size	_ZN4vllm4gptq33gemm_half_q_half_gptq_3bit_kernelILb1ELi5EEEvPK6__halfPKjS6_S4_PS2_iiiibPKi, .Lfunc_end32-_ZN4vllm4gptq33gemm_half_q_half_gptq_3bit_kernelILb1ELi5EEEvPK6__halfPKjS6_S4_PS2_iiiibPKi
                                        ; -- End function
	.section	.AMDGPU.csdata,"",@progbits
; Kernel info:
; codeLenInByte = 8328
; NumSgprs: 44
; NumVgprs: 116
; NumAgprs: 0
; TotalNumVgprs: 116
; ScratchSize: 0
; MemoryBound: 0
; FloatMode: 240
; IeeeMode: 1
; LDSByteSize: 1280 bytes/workgroup (compile time only)
; SGPRBlocks: 5
; VGPRBlocks: 14
; NumSGPRsForWavesPerEU: 44
; NumVGPRsForWavesPerEU: 116
; AccumOffset: 116
; Occupancy: 4
; WaveLimiterHint : 0
; COMPUTE_PGM_RSRC2:SCRATCH_EN: 0
; COMPUTE_PGM_RSRC2:USER_SGPR: 6
; COMPUTE_PGM_RSRC2:TRAP_HANDLER: 0
; COMPUTE_PGM_RSRC2:TGID_X_EN: 1
; COMPUTE_PGM_RSRC2:TGID_Y_EN: 1
; COMPUTE_PGM_RSRC2:TGID_Z_EN: 1
; COMPUTE_PGM_RSRC2:TIDIG_COMP_CNT: 0
; COMPUTE_PGM_RSRC3_GFX90A:ACCUM_OFFSET: 28
; COMPUTE_PGM_RSRC3_GFX90A:TG_SPLIT: 0
	.section	.text._ZN4vllm4gptq33gemm_half_q_half_gptq_4bit_kernelILb1ELi5EEEvPK6__halfPKjS6_S4_PS2_iiiibPKi,"axG",@progbits,_ZN4vllm4gptq33gemm_half_q_half_gptq_4bit_kernelILb1ELi5EEEvPK6__halfPKjS6_S4_PS2_iiiibPKi,comdat
	.protected	_ZN4vllm4gptq33gemm_half_q_half_gptq_4bit_kernelILb1ELi5EEEvPK6__halfPKjS6_S4_PS2_iiiibPKi ; -- Begin function _ZN4vllm4gptq33gemm_half_q_half_gptq_4bit_kernelILb1ELi5EEEvPK6__halfPKjS6_S4_PS2_iiiibPKi
	.globl	_ZN4vllm4gptq33gemm_half_q_half_gptq_4bit_kernelILb1ELi5EEEvPK6__halfPKjS6_S4_PS2_iiiibPKi
	.p2align	8
	.type	_ZN4vllm4gptq33gemm_half_q_half_gptq_4bit_kernelILb1ELi5EEEvPK6__halfPKjS6_S4_PS2_iiiibPKi,@function
_ZN4vllm4gptq33gemm_half_q_half_gptq_4bit_kernelILb1ELi5EEEvPK6__halfPKjS6_S4_PS2_iiiibPKi: ; @_ZN4vllm4gptq33gemm_half_q_half_gptq_4bit_kernelILb1ELi5EEEvPK6__halfPKjS6_S4_PS2_iiiibPKi
; %bb.0:
	s_load_dwordx8 s[12:19], s[4:5], 0x8
	s_load_dwordx4 s[20:23], s[4:5], 0x2c
	s_lshl_b32 s24, s8, 7
	s_add_i32 s0, s24, 0x80
	v_cvt_f64_u32_e32 v[2:3], s0
	s_mul_i32 s7, s7, 5
	s_waitcnt lgkmcnt(0)
	v_cvt_f64_i32_e32 v[4:5], s21
	v_min_f64 v[2:3], v[2:3], v[4:5]
	v_cvt_i32_f64_e32 v1, v[2:3]
	v_add_u32_e32 v2, s24, v0
	v_readfirstlane_b32 s25, v1
	v_cmp_lt_u32_e32 vcc, v2, v1
	s_and_saveexec_b64 s[2:3], vcc
	s_cbranch_execz .LBB33_12
; %bb.1:
	s_load_dwordx2 s[0:1], s[4:5], 0x40
	s_load_dwordx2 s[8:9], s[4:5], 0x0
	v_mov_b32_e32 v3, 0
	v_lshlrev_b64 v[4:5], 2, v[2:3]
	v_pk_mov_b32 v[6:7], v[2:3], v[2:3] op_sel:[0,1]
	s_waitcnt lgkmcnt(0)
	s_cmp_lg_u64 s[0:1], 0
	v_mov_b32_e32 v1, s1
	v_add_co_u32_e32 v4, vcc, s0, v4
	s_cselect_b64 s[4:5], -1, 0
	s_cmp_eq_u64 s[0:1], 0
	v_addc_co_u32_e32 v5, vcc, v1, v5, vcc
	s_cbranch_scc1 .LBB33_3
; %bb.2:
	global_load_dword v6, v[4:5], off
	s_waitcnt vmcnt(0)
	v_ashrrev_i32_e32 v7, 31, v6
.LBB33_3:
	s_mul_i32 s10, s7, s21
	s_ashr_i32 s11, s10, 31
	s_lshl_b64 s[0:1], s[10:11], 1
	s_add_u32 s0, s8, s0
	s_addc_u32 s1, s9, s1
	v_lshlrev_b64 v[6:7], 1, v[6:7]
	v_mov_b32_e32 v1, s1
	v_add_co_u32_e32 v6, vcc, s0, v6
	v_addc_co_u32_e32 v7, vcc, v1, v7, vcc
	global_load_ushort v6, v[6:7], off
	v_lshlrev_b32_e32 v1, 1, v0
	v_cndmask_b32_e64 v7, 0, 1, s[4:5]
	v_cmp_ne_u32_e64 s[0:1], 1, v7
	s_andn2_b64 vcc, exec, s[4:5]
	s_waitcnt vmcnt(0)
	ds_write_b16 v1, v6
	v_pk_mov_b32 v[6:7], v[2:3], v[2:3] op_sel:[0,1]
	s_cbranch_vccnz .LBB33_5
; %bb.4:
	global_load_dword v6, v[4:5], off
	s_waitcnt vmcnt(0)
	v_ashrrev_i32_e32 v7, 31, v6
.LBB33_5:
	s_add_i32 s4, s10, s21
	s_ashr_i32 s5, s4, 31
	s_lshl_b64 s[10:11], s[4:5], 1
	s_add_u32 s5, s8, s10
	s_addc_u32 s10, s9, s11
	v_lshlrev_b64 v[6:7], 1, v[6:7]
	v_mov_b32_e32 v8, s10
	v_add_co_u32_e32 v6, vcc, s5, v6
	v_addc_co_u32_e32 v7, vcc, v8, v7, vcc
	global_load_ushort v6, v[6:7], off
	s_and_b64 vcc, exec, s[0:1]
	s_waitcnt vmcnt(0)
	ds_write_b16 v1, v6 offset:256
	v_pk_mov_b32 v[6:7], v[2:3], v[2:3] op_sel:[0,1]
	s_cbranch_vccnz .LBB33_7
; %bb.6:
	global_load_dword v6, v[4:5], off
	s_waitcnt vmcnt(0)
	v_ashrrev_i32_e32 v7, 31, v6
.LBB33_7:
	s_add_i32 s4, s4, s21
	s_ashr_i32 s5, s4, 31
	s_lshl_b64 s[10:11], s[4:5], 1
	s_add_u32 s5, s8, s10
	s_addc_u32 s10, s9, s11
	v_lshlrev_b64 v[6:7], 1, v[6:7]
	v_mov_b32_e32 v8, s10
	v_add_co_u32_e32 v6, vcc, s5, v6
	v_addc_co_u32_e32 v7, vcc, v8, v7, vcc
	global_load_ushort v6, v[6:7], off
	s_and_b64 vcc, exec, s[0:1]
	s_waitcnt vmcnt(0)
	ds_write_b16 v1, v6 offset:512
	;; [unrolled: 20-line block ×3, first 2 shown]
	s_cbranch_vccnz .LBB33_11
; %bb.10:
	global_load_dword v2, v[4:5], off
	s_waitcnt vmcnt(0)
	v_ashrrev_i32_e32 v3, 31, v2
.LBB33_11:
	s_add_i32 s0, s4, s21
	s_ashr_i32 s1, s0, 31
	s_lshl_b64 s[0:1], s[0:1], 1
	s_add_u32 s0, s8, s0
	s_addc_u32 s1, s9, s1
	v_lshlrev_b64 v[2:3], 1, v[2:3]
	v_mov_b32_e32 v4, s1
	v_add_co_u32_e32 v2, vcc, s0, v2
	v_addc_co_u32_e32 v3, vcc, v4, v3, vcc
	global_load_ushort v2, v[2:3], off
	s_waitcnt vmcnt(0)
	ds_write_b16 v1, v2 offset:1024
.LBB33_12:
	s_or_b64 exec, exec, s[2:3]
	v_lshlrev_b32_e32 v1, 2, v0
	v_lshl_add_u32 v4, s6, 9, v1
	v_cmp_gt_i32_e32 vcc, s20, v4
	s_and_saveexec_b64 s[0:1], vcc
	s_cbranch_execz .LBB33_39
; %bb.13:
	s_abs_i32 s0, s22
	v_cvt_f32_u32_e32 v1, s0
	s_mov_b32 s4, 0
	v_mov_b32_e32 v21, 0
	v_mov_b32_e32 v20, 0
	v_rcp_iflag_f32_e32 v1, v1
	v_mov_b32_e32 v15, 0
	v_mov_b32_e32 v14, 0
	s_cmp_ge_i32 s24, s25
	v_mul_f32_e32 v1, 0x4f7ffffe, v1
	v_cvt_u32_f32_e32 v1, v1
	v_mov_b32_e32 v11, 0
	v_mov_b32_e32 v10, 0
	;; [unrolled: 1-line block ×3, first 2 shown]
	v_readfirstlane_b32 s1, v1
	v_mov_b32_e32 v8, 0
	v_mov_b32_e32 v7, 0
	;; [unrolled: 1-line block ×3, first 2 shown]
	s_waitcnt lgkmcnt(0)
	s_barrier
	s_cbranch_scc1 .LBB33_19
; %bb.14:
	s_sub_i32 s6, 0, s0
	s_mul_i32 s6, s6, s1
	s_mul_hi_u32 s6, s1, s6
	s_abs_i32 s5, s21
	s_add_i32 s1, s1, s6
	s_ashr_i32 s2, s21, 31
	s_ashr_i32 s3, s22, 31
	s_mul_hi_u32 s1, s5, s1
	s_xor_b32 s2, s2, s3
	s_mul_i32 s3, s1, s0
	s_sub_i32 s3, s5, s3
	s_add_i32 s5, s1, 1
	s_sub_i32 s6, s3, s0
	s_cmp_ge_u32 s3, s0
	s_cselect_b32 s1, s5, s1
	s_cselect_b32 s3, s6, s3
	s_add_i32 s5, s1, 1
	s_cmp_ge_u32 s3, s0
	s_cselect_b32 s0, s5, s1
	s_xor_b32 s0, s0, s2
	s_sub_i32 s5, s0, s2
	v_cvt_f32_u32_e32 v1, s5
	s_bitcmp1_b32 s23, 0
	s_cselect_b64 s[0:1], -1, 0
	s_sub_i32 s2, 0, s5
	v_rcp_iflag_f32_e32 v1, v1
	s_xor_b64 s[0:1], s[0:1], -1
	v_ashrrev_i32_e32 v5, 31, v4
	v_lshrrev_b32_e32 v2, 29, v5
	v_mul_f32_e32 v1, 0x4f7ffffe, v1
	v_cvt_u32_f32_e32 v1, v1
	v_add_u32_e32 v2, v4, v2
	v_ashrrev_i32_e32 v34, 3, v2
	v_lshlrev_b32_e32 v22, 4, v0
	v_readfirstlane_b32 s3, v1
	s_mul_i32 s2, s2, s3
	s_mul_hi_u32 s2, s3, s2
	s_add_i32 s3, s3, s2
	s_mul_hi_u32 s2, s24, s3
	s_mul_i32 s3, s2, s5
	s_sub_i32 s3, s24, s3
	s_add_i32 s6, s2, 1
	s_sub_i32 s8, s3, s5
	s_cmp_ge_u32 s3, s5
	s_cselect_b32 s2, s6, s2
	s_cselect_b32 s3, s8, s3
	s_add_i32 s6, s2, 1
	s_cmp_ge_u32 s3, s5
	s_cselect_b32 s6, s6, s2
	s_mul_i32 s2, s6, s20
	s_ashr_i32 s3, s2, 31
	s_lshr_b32 s3, s3, 29
	v_add_u32_e32 v2, s2, v4
	s_add_i32 s2, s2, s3
	v_ashrrev_i32_e32 v3, 31, v2
	s_ashr_i32 s2, s2, 3
	v_lshlrev_b64 v[2:3], 1, v[2:3]
	v_add_u32_e32 v6, s2, v34
	v_mov_b32_e32 v1, s17
	v_add_co_u32_e32 v2, vcc, s16, v2
	v_ashrrev_i32_e32 v7, 31, v6
	v_addc_co_u32_e32 v3, vcc, v1, v3, vcc
	v_lshlrev_b64 v[6:7], 2, v[6:7]
	v_mov_b32_e32 v1, s15
	v_add_co_u32_e32 v6, vcc, s14, v6
	v_addc_co_u32_e32 v7, vcc, v1, v7, vcc
	global_load_dword v11, v[6:7], off
	v_lshlrev_b64 v[0:1], 2, v[4:5]
	global_load_dwordx2 v[2:3], v[2:3], off
	v_cndmask_b32_e64 v5, 0, 1, s[0:1]
	s_lshr_b32 s0, s24, 3
	s_mul_i32 s0, s0, s20
	s_ashr_i32 s1, s0, 31
	s_lshl_b64 s[0:1], s[0:1], 2
	s_add_u32 s11, s12, s0
	s_addc_u32 s0, s13, s1
	v_and_b32_e32 v35, 16, v22
	v_mov_b32_e32 v15, s0
	v_add_co_u32_e32 v14, vcc, s11, v0
	v_addc_co_u32_e32 v15, vcc, v15, v1, vcc
	s_mov_b32 s8, 0x5040100
	v_mov_b32_e32 v8, 0
	s_ashr_i32 s21, s20, 31
	s_movk_i32 s9, 0x2c00
	v_mov_b32_e32 v9, v8
	v_mov_b32_e32 v16, v8
	;; [unrolled: 1-line block ×10, first 2 shown]
	s_add_i32 s10, s5, s24
	s_lshl_b64 s[0:1], s[20:21], 4
	s_lshl_b64 s[2:3], s[20:21], 2
	v_mov_b32_e32 v27, v8
	v_mov_b32_e32 v28, v8
	v_mov_b32_e32 v29, v8
	v_mov_b32_e32 v30, v8
	v_mov_b32_e32 v31, v8
	s_waitcnt vmcnt(1)
	v_lshrrev_b32_e32 v0, v22, v11
	v_bfe_u32 v1, v11, v35, 4
	s_waitcnt vmcnt(0)
	v_cvt_f32_f16_e32 v20, v2
	v_cvt_f32_f16_sdwa v21, v2 dst_sel:DWORD dst_unused:UNUSED_PAD src0_sel:WORD_1
	v_cvt_f32_f16_e32 v24, v3
	v_cvt_f32_f16_sdwa v25, v3 dst_sel:DWORD dst_unused:UNUSED_PAD src0_sel:WORD_1
	v_bfe_u32 v2, v0, 12, 4
	v_bfe_u32 v3, v0, 8, 4
	v_bfe_u32 v0, v0, 4, 4
	v_add_u32_e32 v1, v1, v5
	v_add_u32_e32 v2, v2, v5
	;; [unrolled: 1-line block ×4, first 2 shown]
	v_cvt_f32_ubyte0_e32 v11, v1
	v_or_b32_e32 v1, 0xffffe400, v1
	v_cvt_f32_ubyte0_e32 v22, v2
	v_or_b32_e32 v2, 0xffffe400, v2
	;; [unrolled: 2-line block ×3, first 2 shown]
	v_cvt_f32_ubyte0_e32 v26, v0
	v_cvt_f16_f32_e32 v11, v11
	v_perm_b32 v36, v1, v1, s8
	v_cvt_f16_f32_e32 v1, v22
	v_perm_b32 v39, v2, v2, s8
	v_cvt_f16_f32_e32 v2, v23
	v_perm_b32 v38, v3, v3, s8
	v_cvt_f16_f32_e32 v3, v26
	v_or_b32_e32 v0, 0xffffe400, v0
	v_perm_b32 v37, v0, v0, s8
	v_sub_f16_e32 v0, 0xd400, v11
	v_sub_f16_e32 v1, 0xd400, v1
	;; [unrolled: 1-line block ×4, first 2 shown]
	v_pack_b32_f16 v40, v0, v0
	v_pack_b32_f16 v43, v1, v1
	;; [unrolled: 1-line block ×4, first 2 shown]
	v_mov_b32_e32 v11, v8
	v_mov_b32_e32 v22, v8
	v_mov_b32_e32 v23, v8
	v_mov_b32_e32 v26, v8
	s_branch .LBB33_16
.LBB33_15:                              ;   in Loop: Header=BB33_16 Depth=1
	global_load_dwordx4 v[44:47], v[14:15], off
	v_mov_b32_e32 v52, s4
	s_add_i32 s11, s4, 0x400
	v_mov_b32_e32 v73, s3
	s_add_i32 s24, s24, 32
	ds_read2_b32 v[70:71], v52 offset0:194 offset1:195
	ds_read2_b32 v[84:85], v52 offset0:6 offset1:7
	ds_read2_b32 v[80:81], v52 offset0:4 offset1:5
	s_waitcnt vmcnt(0)
	v_lshrrev_b32_e32 v2, 8, v44
	v_and_b32_e32 v0, 0xf000f, v44
	v_and_b32_e32 v1, 0xf000f0, v44
	;; [unrolled: 1-line block ×4, first 2 shown]
	v_or_b32_e32 v0, 0x64006400, v0
	v_or_b32_e32 v1, 0x64006400, v1
	;; [unrolled: 1-line block ×4, first 2 shown]
	v_lshrrev_b32_e32 v44, 8, v45
	v_pk_add_f16 v3, v36, v0
	v_pk_fma_f16 v2, v1, s9, v40 op_sel_hi:[1,0,1]
	v_pk_add_f16 v0, v36, v32
	v_pk_fma_f16 v1, v33, s9, v40 op_sel_hi:[1,0,1]
	v_and_b32_e32 v32, 0xf000f, v45
	v_and_b32_e32 v33, 0xf000f0, v45
	;; [unrolled: 1-line block ×4, first 2 shown]
	v_or_b32_e32 v45, 0x64006400, v45
	v_or_b32_e32 v48, 0x64006400, v44
	v_pk_add_f16 v44, v37, v45
	v_pk_fma_f16 v45, v48, s9, v41 op_sel_hi:[1,0,1]
	v_and_b32_e32 v48, 0xf000f, v46
	v_and_b32_e32 v49, 0xf000f0, v46
	v_lshrrev_b32_e32 v46, 8, v46
	v_and_b32_e32 v50, 0xf000f, v46
	v_and_b32_e32 v46, 0xf000f0, v46
	v_or_b32_e32 v48, 0x64006400, v48
	v_or_b32_e32 v46, 0x64006400, v46
	;; [unrolled: 1-line block ×3, first 2 shown]
	v_pk_add_f16 v53, v38, v48
	v_pk_fma_f16 v56, v46, s9, v42 op_sel_hi:[1,0,1]
	v_and_b32_e32 v46, 0xf000f, v47
	v_and_b32_e32 v48, 0xf000f0, v47
	v_lshrrev_b32_e32 v47, 8, v47
	v_pk_fma_f16 v54, v49, s9, v42 op_sel_hi:[1,0,1]
	v_and_b32_e32 v49, 0xf000f, v47
	v_and_b32_e32 v47, 0xf000f0, v47
	v_or_b32_e32 v46, 0x64006400, v46
	v_or_b32_e32 v47, 0x64006400, v47
	v_pk_add_f16 v57, v39, v46
	v_pk_fma_f16 v62, v47, s9, v43 op_sel_hi:[1,0,1]
	ds_read2_b32 v[46:47], v52 offset1:1
	v_or_b32_e32 v48, 0x64006400, v48
	v_or_b32_e32 v50, 0x64006400, v50
	;; [unrolled: 1-line block ×3, first 2 shown]
	v_pk_fma_f16 v58, v48, s9, v43 op_sel_hi:[1,0,1]
	s_waitcnt lgkmcnt(0)
	v_pk_fma_f16 v48, v3, v46, 0
	v_pk_add_f16 v55, v38, v50
	v_pk_add_f16 v60, v39, v49
	v_pk_fma_f16 v50, v2, v47, v48
	ds_read2_b32 v[48:49], v52 offset0:2 offset1:3
	v_or_b32_e32 v32, 0x64006400, v32
	v_or_b32_e32 v33, 0x64006400, v33
	v_pk_add_f16 v32, v37, v32
	v_pk_fma_f16 v33, v33, s9, v41 op_sel_hi:[1,0,1]
	s_waitcnt lgkmcnt(0)
	v_pk_fma_f16 v50, v0, v48, v50
	v_pk_fma_f16 v91, v1, v49, v50
	;; [unrolled: 1-line block ×12, first 2 shown]
	ds_read2_b32 v[46:47], v52 offset0:64 offset1:65
	v_pk_fma_f16 v50, v55, v48, v50
	v_pk_fma_f16 v79, v56, v49, v50
	v_cvt_f32_f16_e32 v121, v92
	v_cvt_f32_f16_e32 v120, v91
	s_waitcnt lgkmcnt(0)
	v_pk_fma_f16 v48, v3, v46, 0
	v_pk_fma_f16 v50, v2, v47, v48
	ds_read2_b32 v[48:49], v52 offset0:66 offset1:67
	v_cvt_f32_f16_sdwa v123, v92 dst_sel:DWORD dst_unused:UNUSED_PAD src0_sel:WORD_1
	v_cvt_f32_f16_sdwa v122, v91 dst_sel:DWORD dst_unused:UNUSED_PAD src0_sel:WORD_1
	s_waitcnt lgkmcnt(0)
	v_pk_fma_f16 v50, v0, v48, v50
	v_pk_fma_f16 v67, v1, v49, v50
	;; [unrolled: 1-line block ×12, first 2 shown]
	ds_read2_b32 v[46:47], v52 offset0:128 offset1:129
	v_pk_fma_f16 v50, v55, v48, v50
	v_pk_fma_f16 v65, v56, v49, v50
	v_pk_add_f32 v[120:121], v[120:121], v[122:123]
	v_pk_fma_f32 v[30:31], v[120:121], v[20:21], v[30:31]
	s_waitcnt lgkmcnt(0)
	v_pk_fma_f16 v48, v3, v46, 0
	v_pk_fma_f16 v50, v2, v47, v48
	ds_read2_b32 v[48:49], v52 offset0:130 offset1:131
	s_waitcnt lgkmcnt(0)
	v_pk_fma_f16 v50, v0, v48, v50
	v_pk_fma_f16 v63, v1, v49, v50
	;; [unrolled: 1-line block ×12, first 2 shown]
	ds_read2_b32 v[46:47], v52 offset0:192 offset1:193
	v_pk_fma_f16 v50, v55, v48, v50
	v_pk_fma_f16 v59, v56, v49, v50
	s_waitcnt lgkmcnt(0)
	v_pk_fma_f16 v48, v3, v46, 0
	v_pk_fma_f16 v48, v2, v47, v48
	;; [unrolled: 1-line block ×15, first 2 shown]
	v_mov_b32_e32 v46, s11
	v_pk_fma_f16 v48, v56, v71, v48
	ds_read2_b32 v[70:71], v46 offset1:1
	s_add_i32 s11, s4, 0x408
	s_waitcnt lgkmcnt(0)
	v_pk_fma_f16 v3, v3, v70, 0
	v_pk_fma_f16 v46, v2, v71, v3
	v_mov_b32_e32 v2, s11
	ds_read2_b32 v[2:3], v2 offset1:1
	s_add_i32 s11, s4, 0x410
	s_waitcnt lgkmcnt(0)
	v_pk_fma_f16 v0, v0, v2, v46
	v_pk_fma_f16 v46, v1, v3, v0
	;; [unrolled: 1-line block ×14, first 2 shown]
	v_add_co_u32_e32 v0, vcc, s2, v14
	v_addc_co_u32_e32 v1, vcc, v15, v73, vcc
	global_load_dwordx4 v[74:77], v[0:1], off
	s_waitcnt vmcnt(0)
	v_lshrrev_b32_e32 v55, 8, v75
	v_and_b32_e32 v56, 0xf000f, v55
	v_and_b32_e32 v55, 0xf000f0, v55
	v_or_b32_e32 v55, 0x64006400, v55
	v_pk_fma_f16 v69, v55, s9, v41 op_sel_hi:[1,0,1]
	v_and_b32_e32 v55, 0xf000f, v76
	v_and_b32_e32 v2, 0xf000f, v74
	v_lshrrev_b32_e32 v32, 8, v74
	v_or_b32_e32 v55, 0x64006400, v55
	v_or_b32_e32 v2, 0x64006400, v2
	v_and_b32_e32 v3, 0xf000f0, v74
	v_and_b32_e32 v33, 0xf000f, v32
	v_and_b32_e32 v32, 0xf000f0, v32
	v_pk_add_f16 v70, v38, v55
	v_and_b32_e32 v55, 0xf000f, v77
	v_or_b32_e32 v3, 0x64006400, v3
	v_or_b32_e32 v53, 0x64006400, v33
	;; [unrolled: 1-line block ×3, first 2 shown]
	v_pk_add_f16 v33, v36, v2
	v_or_b32_e32 v55, 0x64006400, v55
	v_pk_fma_f16 v32, v3, s9, v40 op_sel_hi:[1,0,1]
	v_pk_add_f16 v2, v36, v53
	v_pk_fma_f16 v3, v54, s9, v40 op_sel_hi:[1,0,1]
	v_and_b32_e32 v53, 0xf000f, v75
	v_and_b32_e32 v54, 0xf000f0, v75
	v_pk_add_f16 v75, v39, v55
	v_pk_fma_f16 v55, v33, v80, 0
	v_or_b32_e32 v53, 0x64006400, v53
	v_pk_fma_f16 v55, v32, v81, v55
	v_or_b32_e32 v54, 0x64006400, v54
	v_pk_add_f16 v53, v37, v53
	v_pk_fma_f16 v55, v2, v84, v55
	v_or_b32_e32 v56, 0x64006400, v56
	v_pk_fma_f16 v54, v54, s9, v41 op_sel_hi:[1,0,1]
	v_pk_fma_f16 v105, v3, v85, v55
	v_pk_fma_f16 v55, v53, v80, 0
	v_pk_add_f16 v56, v37, v56
	v_and_b32_e32 v57, 0xf000f0, v76
	v_lshrrev_b32_e32 v58, 8, v76
	v_pk_fma_f16 v55, v54, v81, v55
	v_or_b32_e32 v57, 0x64006400, v57
	v_and_b32_e32 v60, 0xf000f, v58
	v_and_b32_e32 v58, 0xf000f0, v58
	v_pk_fma_f16 v55, v56, v84, v55
	v_or_b32_e32 v60, 0x64006400, v60
	v_or_b32_e32 v58, 0x64006400, v58
	v_pk_fma_f16 v71, v57, s9, v42 op_sel_hi:[1,0,1]
	v_pk_fma_f16 v106, v69, v85, v55
	v_pk_fma_f16 v55, v70, v80, 0
	v_pk_add_f16 v72, v38, v60
	v_pk_fma_f16 v74, v58, s9, v42 op_sel_hi:[1,0,1]
	v_and_b32_e32 v57, 0xf000f0, v77
	v_lshrrev_b32_e32 v58, 8, v77
	v_pk_fma_f16 v55, v71, v81, v55
	v_or_b32_e32 v57, 0x64006400, v57
	v_and_b32_e32 v60, 0xf000f, v58
	v_pk_fma_f16 v55, v72, v84, v55
	v_or_b32_e32 v60, 0x64006400, v60
	v_and_b32_e32 v58, 0xf000f0, v58
	v_pk_fma_f16 v76, v57, s9, v43 op_sel_hi:[1,0,1]
	v_pk_fma_f16 v103, v74, v85, v55
	v_pk_fma_f16 v55, v75, v80, 0
	v_or_b32_e32 v58, 0x64006400, v58
	v_pk_add_f16 v77, v39, v60
	v_pk_fma_f16 v55, v76, v81, v55
	ds_read2_b32 v[80:81], v52 offset0:68 offset1:69
	v_pk_fma_f16 v78, v58, s9, v43 op_sel_hi:[1,0,1]
	v_pk_fma_f16 v55, v77, v84, v55
	v_pk_fma_f16 v104, v78, v85, v55
	ds_read2_b32 v[84:85], v52 offset0:70 offset1:71
	s_waitcnt lgkmcnt(1)
	v_pk_fma_f16 v55, v33, v80, 0
	v_pk_fma_f16 v55, v32, v81, v55
	v_cvt_f32_f16_e32 v121, v106
	v_cvt_f32_f16_e32 v120, v105
	s_waitcnt lgkmcnt(0)
	v_pk_fma_f16 v55, v2, v84, v55
	v_pk_fma_f16 v101, v3, v85, v55
	;; [unrolled: 1-line block ×12, first 2 shown]
	ds_read2_b32 v[80:81], v52 offset0:132 offset1:133
	v_pk_fma_f16 v55, v77, v84, v55
	v_pk_fma_f16 v100, v78, v85, v55
	ds_read2_b32 v[84:85], v52 offset0:134 offset1:135
	v_cvt_f32_f16_sdwa v123, v106 dst_sel:DWORD dst_unused:UNUSED_PAD src0_sel:WORD_1
	s_waitcnt lgkmcnt(1)
	v_pk_fma_f16 v55, v33, v80, 0
	v_pk_fma_f16 v55, v32, v81, v55
	v_cvt_f32_f16_sdwa v122, v105 dst_sel:DWORD dst_unused:UNUSED_PAD src0_sel:WORD_1
	s_waitcnt lgkmcnt(0)
	v_pk_fma_f16 v55, v2, v84, v55
	v_pk_fma_f16 v97, v3, v85, v55
	;; [unrolled: 1-line block ×12, first 2 shown]
	ds_read2_b32 v[80:81], v52 offset0:196 offset1:197
	v_pk_fma_f16 v55, v77, v84, v55
	v_pk_fma_f16 v96, v78, v85, v55
	ds_read2_b32 v[84:85], v52 offset0:198 offset1:199
	v_pk_add_f32 v[120:121], v[120:121], v[122:123]
	s_waitcnt lgkmcnt(1)
	v_pk_fma_f16 v55, v33, v80, 0
	v_pk_fma_f16 v55, v32, v81, v55
	v_pk_fma_f32 v[30:31], v[120:121], v[20:21], v[30:31]
	s_waitcnt lgkmcnt(0)
	v_pk_fma_f16 v55, v2, v84, v55
	v_pk_fma_f16 v60, v3, v85, v55
	;; [unrolled: 1-line block ×14, first 2 shown]
	v_mov_b32_e32 v55, s11
	ds_read2_b32 v[80:81], v55 offset1:1
	s_add_i32 s11, s4, 0x418
	v_cvt_f32_f16_sdwa v105, v104 dst_sel:DWORD dst_unused:UNUSED_PAD src0_sel:WORD_1
	s_waitcnt lgkmcnt(0)
	v_pk_fma_f16 v33, v33, v80, 0
	v_pk_fma_f16 v55, v32, v81, v33
	v_mov_b32_e32 v32, s11
	ds_read2_b32 v[32:33], v32 offset1:1
	s_add_i32 s11, s4, 0x420
	s_waitcnt lgkmcnt(0)
	v_pk_fma_f16 v2, v2, v32, v55
	v_pk_fma_f16 v55, v3, v33, v2
	;; [unrolled: 1-line block ×13, first 2 shown]
	v_add_co_u32_e32 v32, vcc, s2, v0
	v_pk_fma_f16 v54, v78, v33, v2
	v_addc_co_u32_e32 v33, vcc, v1, v73, vcc
	global_load_dwordx4 v[0:3], v[32:33], off
	ds_read2_b32 v[74:75], v52 offset0:138 offset1:139
	v_add_co_u32_e32 v32, vcc, s2, v32
	v_addc_co_u32_e32 v33, vcc, v33, v73, vcc
	v_add_co_u32_e32 v14, vcc, s0, v14
	s_waitcnt vmcnt(0)
	v_and_b32_e32 v69, 0xf000f, v0
	v_and_b32_e32 v70, 0xf000f0, v0
	v_lshrrev_b32_e32 v0, 8, v0
	v_and_b32_e32 v71, 0xf000f, v0
	v_and_b32_e32 v0, 0xf000f0, v0
	v_or_b32_e32 v70, 0x64006400, v70
	v_or_b32_e32 v0, 0x64006400, v0
	;; [unrolled: 1-line block ×3, first 2 shown]
	v_pk_fma_f16 v72, v70, s9, v40 op_sel_hi:[1,0,1]
	v_pk_fma_f16 v80, v0, s9, v40 op_sel_hi:[1,0,1]
	v_and_b32_e32 v0, 0xf000f, v1
	v_and_b32_e32 v70, 0xf000f0, v1
	v_lshrrev_b32_e32 v1, 8, v1
	v_pk_add_f16 v78, v36, v71
	v_and_b32_e32 v71, 0xf000f, v1
	v_and_b32_e32 v1, 0xf000f0, v1
	v_or_b32_e32 v0, 0x64006400, v0
	v_or_b32_e32 v1, 0x64006400, v1
	v_pk_add_f16 v81, v37, v0
	v_pk_fma_f16 v86, v1, s9, v41 op_sel_hi:[1,0,1]
	v_and_b32_e32 v0, 0xf000f, v2
	v_and_b32_e32 v1, 0xf000f0, v2
	v_or_b32_e32 v0, 0x64006400, v0
	v_or_b32_e32 v1, 0x64006400, v1
	v_pk_add_f16 v87, v38, v0
	v_pk_fma_f16 v89, v1, s9, v42 op_sel_hi:[1,0,1]
	v_and_b32_e32 v0, 0xf000f, v3
	v_and_b32_e32 v1, 0xf000f0, v3
	v_or_b32_e32 v70, 0x64006400, v70
	v_lshrrev_b32_e32 v2, 8, v2
	v_or_b32_e32 v0, 0x64006400, v0
	v_or_b32_e32 v1, 0x64006400, v1
	v_pk_fma_f16 v84, v70, s9, v41 op_sel_hi:[1,0,1]
	v_and_b32_e32 v70, 0xf000f, v2
	v_and_b32_e32 v2, 0xf000f0, v2
	v_pk_add_f16 v116, v39, v0
	v_pk_fma_f16 v117, v1, s9, v43 op_sel_hi:[1,0,1]
	ds_read2_b32 v[0:1], v52 offset0:8 offset1:9
	v_or_b32_e32 v2, 0x64006400, v2
	v_pk_fma_f16 v115, v2, s9, v42 op_sel_hi:[1,0,1]
	v_lshrrev_b32_e32 v2, 8, v3
	v_or_b32_e32 v69, 0x64006400, v69
	v_and_b32_e32 v3, 0xf000f, v2
	v_and_b32_e32 v2, 0xf000f0, v2
	v_pk_add_f16 v69, v36, v69
	v_or_b32_e32 v2, 0x64006400, v2
	v_or_b32_e32 v70, 0x64006400, v70
	;; [unrolled: 1-line block ×3, first 2 shown]
	v_pk_fma_f16 v119, v2, s9, v43 op_sel_hi:[1,0,1]
	s_waitcnt lgkmcnt(0)
	v_pk_fma_f16 v2, v69, v0, 0
	v_pk_add_f16 v90, v38, v70
	v_pk_add_f16 v118, v39, v3
	v_pk_fma_f16 v70, v72, v1, v2
	ds_read2_b32 v[2:3], v52 offset0:10 offset1:11
	v_or_b32_e32 v71, 0x64006400, v71
	v_pk_add_f16 v85, v37, v71
	s_waitcnt lgkmcnt(0)
	v_pk_fma_f16 v70, v78, v2, v70
	v_pk_fma_f16 v113, v80, v3, v70
	;; [unrolled: 1-line block ×12, first 2 shown]
	ds_read2_b32 v[0:1], v52 offset0:72 offset1:73
	v_pk_fma_f16 v70, v90, v2, v70
	v_pk_fma_f16 v111, v115, v3, v70
	v_cvt_f32_f16_e32 v121, v114
	v_cvt_f32_f16_e32 v120, v113
	s_waitcnt lgkmcnt(0)
	v_pk_fma_f16 v2, v69, v0, 0
	v_pk_fma_f16 v70, v72, v1, v2
	ds_read2_b32 v[2:3], v52 offset0:74 offset1:75
	s_waitcnt lgkmcnt(0)
	v_pk_fma_f16 v70, v78, v2, v70
	v_pk_fma_f16 v109, v80, v3, v70
	;; [unrolled: 1-line block ×10, first 2 shown]
	ds_read2_b32 v[70:71], v52 offset0:136 offset1:137
	v_pk_fma_f16 v0, v116, v0, 0
	v_pk_fma_f16 v0, v117, v1, v0
	;; [unrolled: 1-line block ×4, first 2 shown]
	s_waitcnt lgkmcnt(0)
	v_pk_fma_f16 v0, v69, v70, 0
	v_pk_fma_f16 v0, v72, v71, v0
	;; [unrolled: 1-line block ×12, first 2 shown]
	ds_read2_b32 v[70:71], v52 offset0:200 offset1:201
	v_pk_fma_f16 v0, v90, v74, v0
	v_pk_fma_f16 v1, v118, v74, v1
	;; [unrolled: 1-line block ×4, first 2 shown]
	s_waitcnt lgkmcnt(0)
	v_pk_fma_f16 v74, v69, v70, 0
	v_pk_fma_f16 v76, v72, v71, v74
	ds_read2_b32 v[74:75], v52 offset0:202 offset1:203
	s_waitcnt lgkmcnt(0)
	v_pk_fma_f16 v76, v78, v74, v76
	v_pk_fma_f16 v93, v80, v75, v76
	;; [unrolled: 1-line block ×13, first 2 shown]
	v_mov_b32_e32 v70, s11
	v_pk_fma_f16 v83, v115, v75, v76
	ds_read2_b32 v[74:75], v70 offset1:1
	s_add_i32 s11, s4, 0x428
	v_mov_b32_e32 v70, s11
	ds_read2_b32 v[76:77], v70 offset1:1
	s_add_i32 s11, s4, 0x430
	s_waitcnt lgkmcnt(1)
	v_pk_fma_f16 v69, v69, v74, 0
	v_pk_fma_f16 v69, v72, v75, v69
	;; [unrolled: 1-line block ×3, first 2 shown]
	s_waitcnt lgkmcnt(0)
	v_pk_fma_f16 v69, v78, v76, v69
	v_pk_fma_f16 v71, v80, v77, v69
	;; [unrolled: 1-line block ×13, first 2 shown]
	global_load_dwordx4 v[74:77], v[32:33], off
	ds_read2_b32 v[116:117], v52 offset0:12 offset1:13
	ds_read2_b32 v[118:119], v52 offset0:14 offset1:15
	s_waitcnt vmcnt(0)
	v_lshrrev_b32_e32 v73, 8, v74
	v_and_b32_e32 v32, 0xf000f, v74
	v_and_b32_e32 v33, 0xf000f0, v74
	;; [unrolled: 1-line block ×4, first 2 shown]
	v_or_b32_e32 v73, 0x64006400, v73
	v_or_b32_e32 v74, 0x64006400, v74
	v_pk_fma_f16 v81, v73, s9, v40 op_sel_hi:[1,0,1]
	v_lshrrev_b32_e32 v73, 8, v75
	v_pk_add_f16 v80, v36, v74
	v_and_b32_e32 v74, 0xf000f, v73
	v_and_b32_e32 v73, 0xf000f0, v73
	v_or_b32_e32 v73, 0x64006400, v73
	v_or_b32_e32 v32, 0x64006400, v32
	v_or_b32_e32 v33, 0x64006400, v33
	v_or_b32_e32 v74, 0x64006400, v74
	v_pk_fma_f16 v87, v73, s9, v41 op_sel_hi:[1,0,1]
	v_lshrrev_b32_e32 v73, 8, v76
	v_pk_add_f16 v90, v36, v32
	v_pk_fma_f16 v89, v33, s9, v40 op_sel_hi:[1,0,1]
	v_and_b32_e32 v32, 0xf000f, v75
	v_and_b32_e32 v33, 0xf000f0, v75
	v_pk_add_f16 v86, v37, v74
	v_and_b32_e32 v74, 0xf000f, v73
	v_and_b32_e32 v73, 0xf000f0, v73
	v_or_b32_e32 v32, 0x64006400, v32
	v_or_b32_e32 v33, 0x64006400, v33
	;; [unrolled: 1-line block ×4, first 2 shown]
	v_pk_add_f16 v84, v37, v32
	v_pk_fma_f16 v85, v33, s9, v41 op_sel_hi:[1,0,1]
	v_and_b32_e32 v32, 0xf000f, v76
	v_and_b32_e32 v33, 0xf000f0, v76
	v_pk_add_f16 v73, v38, v74
	v_pk_fma_f16 v74, v75, s9, v42 op_sel_hi:[1,0,1]
	v_and_b32_e32 v75, 0xf000f, v77
	v_and_b32_e32 v76, 0xf000f0, v77
	v_lshrrev_b32_e32 v77, 8, v77
	v_and_b32_e32 v78, 0xf000f, v77
	v_and_b32_e32 v77, 0xf000f0, v77
	v_or_b32_e32 v78, 0x64006400, v78
	v_or_b32_e32 v115, 0x64006400, v77
	v_pk_add_f16 v77, v39, v78
	v_pk_fma_f16 v78, v115, s9, v43 op_sel_hi:[1,0,1]
	s_waitcnt lgkmcnt(1)
	v_pk_fma_f16 v115, v90, v116, 0
	v_pk_fma_f16 v115, v89, v117, v115
	s_waitcnt lgkmcnt(0)
	v_pk_fma_f16 v115, v80, v118, v115
	v_pk_fma_f16 v124, v81, v119, v115
	;; [unrolled: 1-line block ×6, first 2 shown]
	v_cvt_f32_f16_sdwa v115, v114 dst_sel:DWORD dst_unused:UNUSED_PAD src0_sel:WORD_1
	v_cvt_f32_f16_sdwa v114, v113 dst_sel:DWORD dst_unused:UNUSED_PAD src0_sel:WORD_1
	v_or_b32_e32 v32, 0x64006400, v32
	v_or_b32_e32 v75, 0x64006400, v75
	;; [unrolled: 1-line block ×3, first 2 shown]
	v_pk_add_f32 v[114:115], v[120:121], v[114:115]
	v_pk_fma_f32 v[30:31], v[114:115], v[20:21], v[30:31]
	v_cvt_f32_f16_e32 v115, v125
	v_cvt_f32_f16_e32 v114, v124
	v_cvt_f32_f16_sdwa v121, v125 dst_sel:DWORD dst_unused:UNUSED_PAD src0_sel:WORD_1
	v_cvt_f32_f16_sdwa v120, v124 dst_sel:DWORD dst_unused:UNUSED_PAD src0_sel:WORD_1
	v_pk_add_f16 v32, v38, v32
	v_or_b32_e32 v76, 0x64006400, v76
	v_pk_add_f16 v75, v39, v75
	v_pk_fma_f16 v33, v33, s9, v42 op_sel_hi:[1,0,1]
	v_pk_fma_f16 v76, v76, s9, v43 op_sel_hi:[1,0,1]
	v_pk_add_f32 v[114:115], v[114:115], v[120:121]
	v_pk_fma_f16 v91, v32, v116, 0
	v_pk_fma_f16 v92, v75, v116, 0
	v_pk_fma_f32 v[30:31], v[114:115], v[20:21], v[30:31]
	v_pk_fma_f16 v91, v33, v117, v91
	v_pk_fma_f16 v92, v76, v117, v92
	v_cvt_f32_f16_e32 v115, v82
	v_cvt_f32_f16_e32 v114, v79
	v_cvt_f32_f16_sdwa v117, v82 dst_sel:DWORD dst_unused:UNUSED_PAD src0_sel:WORD_1
	v_cvt_f32_f16_sdwa v116, v79 dst_sel:DWORD dst_unused:UNUSED_PAD src0_sel:WORD_1
	;; [unrolled: 1-line block ×3, first 2 shown]
	v_pk_fma_f16 v91, v73, v118, v91
	v_pk_fma_f16 v92, v77, v118, v92
	v_pk_add_f32 v[114:115], v[114:115], v[116:117]
	v_pk_fma_f32 v[28:29], v[114:115], v[24:25], v[28:29]
	v_cvt_f32_f16_e32 v115, v104
	v_cvt_f32_f16_e32 v114, v103
	v_cvt_f32_f16_sdwa v104, v103 dst_sel:DWORD dst_unused:UNUSED_PAD src0_sel:WORD_1
	v_pk_fma_f16 v91, v74, v119, v91
	v_pk_fma_f16 v92, v78, v119, v92
	v_cvt_f32_f16_sdwa v117, v68 dst_sel:DWORD dst_unused:UNUSED_PAD src0_sel:WORD_1
	v_pk_add_f32 v[104:105], v[114:115], v[104:105]
	v_pk_fma_f32 v[28:29], v[104:105], v[24:25], v[28:29]
	v_cvt_f32_f16_e32 v105, v112
	v_cvt_f32_f16_e32 v104, v111
	v_cvt_f32_f16_sdwa v112, v111 dst_sel:DWORD dst_unused:UNUSED_PAD src0_sel:WORD_1
	v_cvt_f32_f16_e32 v115, v68
	v_cvt_f32_f16_e32 v114, v67
	v_cvt_f32_f16_sdwa v116, v67 dst_sel:DWORD dst_unused:UNUSED_PAD src0_sel:WORD_1
	v_pk_add_f32 v[104:105], v[104:105], v[112:113]
	v_pk_fma_f32 v[28:29], v[104:105], v[24:25], v[28:29]
	v_cvt_f32_f16_e32 v105, v92
	v_cvt_f32_f16_e32 v104, v91
	v_cvt_f32_f16_sdwa v113, v92 dst_sel:DWORD dst_unused:UNUSED_PAD src0_sel:WORD_1
	v_cvt_f32_f16_sdwa v112, v91 dst_sel:DWORD dst_unused:UNUSED_PAD src0_sel:WORD_1
	v_pk_add_f32 v[114:115], v[114:115], v[116:117]
	v_pk_fma_f32 v[26:27], v[114:115], v[20:21], v[26:27]
	v_cvt_f32_f16_e32 v115, v102
	v_pk_add_f32 v[104:105], v[104:105], v[112:113]
	v_cvt_f32_f16_e32 v114, v101
	v_cvt_f32_f16_sdwa v103, v102 dst_sel:DWORD dst_unused:UNUSED_PAD src0_sel:WORD_1
	v_cvt_f32_f16_sdwa v102, v101 dst_sel:DWORD dst_unused:UNUSED_PAD src0_sel:WORD_1
	v_pk_fma_f32 v[28:29], v[104:105], v[24:25], v[28:29]
	ds_read2_b32 v[104:105], v52 offset0:76 offset1:77
	ds_read2_b32 v[112:113], v52 offset0:78 offset1:79
	v_pk_add_f32 v[102:103], v[114:115], v[102:103]
	v_pk_fma_f32 v[26:27], v[102:103], v[20:21], v[26:27]
	v_cvt_f32_f16_e32 v103, v110
	v_cvt_f32_f16_e32 v102, v109
	v_cvt_f32_f16_sdwa v111, v110 dst_sel:DWORD dst_unused:UNUSED_PAD src0_sel:WORD_1
	v_cvt_f32_f16_sdwa v110, v109 dst_sel:DWORD dst_unused:UNUSED_PAD src0_sel:WORD_1
	s_waitcnt lgkmcnt(1)
	v_pk_fma_f16 v79, v90, v104, 0
	v_pk_fma_f16 v82, v84, v104, 0
	;; [unrolled: 1-line block ×4, first 2 shown]
	s_waitcnt lgkmcnt(0)
	v_pk_fma_f16 v79, v80, v112, v79
	v_pk_fma_f16 v82, v86, v112, v82
	;; [unrolled: 1-line block ×4, first 2 shown]
	v_pk_add_f32 v[102:103], v[102:103], v[110:111]
	v_pk_fma_f16 v67, v32, v104, 0
	v_pk_fma_f32 v[26:27], v[102:103], v[20:21], v[26:27]
	v_cvt_f32_f16_e32 v103, v82
	v_cvt_f32_f16_e32 v102, v79
	v_cvt_f32_f16_sdwa v111, v82 dst_sel:DWORD dst_unused:UNUSED_PAD src0_sel:WORD_1
	v_cvt_f32_f16_sdwa v110, v79 dst_sel:DWORD dst_unused:UNUSED_PAD src0_sel:WORD_1
	v_pk_fma_f16 v67, v33, v105, v67
	v_pk_fma_f16 v67, v73, v112, v67
	;; [unrolled: 1-line block ×5, first 2 shown]
	v_pk_add_f32 v[102:103], v[102:103], v[110:111]
	v_pk_fma_f16 v67, v77, v112, v67
	v_pk_fma_f32 v[26:27], v[102:103], v[20:21], v[26:27]
	v_pk_fma_f16 v79, v78, v113, v67
	v_cvt_f32_f16_e32 v103, v66
	v_cvt_f32_f16_e32 v102, v65
	v_cvt_f32_f16_sdwa v67, v66 dst_sel:DWORD dst_unused:UNUSED_PAD src0_sel:WORD_1
	v_cvt_f32_f16_sdwa v66, v65 dst_sel:DWORD dst_unused:UNUSED_PAD src0_sel:WORD_1
	;; [unrolled: 1-line block ×3, first 2 shown]
	v_pk_add_f32 v[66:67], v[102:103], v[66:67]
	v_pk_fma_f32 v[22:23], v[66:67], v[24:25], v[22:23]
	v_cvt_f32_f16_e32 v67, v100
	v_cvt_f32_f16_e32 v66, v99
	v_cvt_f32_f16_sdwa v100, v99 dst_sel:DWORD dst_unused:UNUSED_PAD src0_sel:WORD_1
	v_cvt_f32_f16_e32 v103, v64
	v_cvt_f32_f16_e32 v102, v63
	v_cvt_f32_f16_sdwa v99, v98 dst_sel:DWORD dst_unused:UNUSED_PAD src0_sel:WORD_1
	v_pk_add_f32 v[66:67], v[66:67], v[100:101]
	v_pk_fma_f32 v[22:23], v[66:67], v[24:25], v[22:23]
	v_cvt_f32_f16_e32 v67, v108
	v_cvt_f32_f16_e32 v66, v107
	v_cvt_f32_f16_sdwa v101, v108 dst_sel:DWORD dst_unused:UNUSED_PAD src0_sel:WORD_1
	v_cvt_f32_f16_sdwa v100, v107 dst_sel:DWORD dst_unused:UNUSED_PAD src0_sel:WORD_1
	v_pk_add_f32 v[66:67], v[66:67], v[100:101]
	v_pk_fma_f32 v[22:23], v[66:67], v[24:25], v[22:23]
	v_cvt_f32_f16_e32 v67, v79
	v_cvt_f32_f16_e32 v66, v68
	v_cvt_f32_f16_sdwa v101, v79 dst_sel:DWORD dst_unused:UNUSED_PAD src0_sel:WORD_1
	v_cvt_f32_f16_sdwa v100, v68 dst_sel:DWORD dst_unused:UNUSED_PAD src0_sel:WORD_1
	v_pk_add_f32 v[66:67], v[66:67], v[100:101]
	v_pk_fma_f32 v[22:23], v[66:67], v[24:25], v[22:23]
	ds_read2_b32 v[66:67], v52 offset0:140 offset1:141
	ds_read2_b32 v[100:101], v52 offset0:142 offset1:143
	s_waitcnt lgkmcnt(1)
	v_pk_fma_f16 v65, v90, v66, 0
	v_pk_fma_f16 v65, v89, v67, v65
	s_waitcnt lgkmcnt(0)
	v_pk_fma_f16 v65, v80, v100, v65
	v_pk_fma_f16 v68, v81, v101, v65
	;; [unrolled: 1-line block ×6, first 2 shown]
	v_cvt_f32_f16_sdwa v65, v64 dst_sel:DWORD dst_unused:UNUSED_PAD src0_sel:WORD_1
	v_cvt_f32_f16_sdwa v64, v63 dst_sel:DWORD dst_unused:UNUSED_PAD src0_sel:WORD_1
	v_pk_add_f32 v[64:65], v[102:103], v[64:65]
	v_pk_fma_f32 v[10:11], v[64:65], v[20:21], v[10:11]
	v_cvt_f32_f16_e32 v65, v98
	v_cvt_f32_f16_e32 v64, v97
	v_cvt_f32_f16_sdwa v98, v97 dst_sel:DWORD dst_unused:UNUSED_PAD src0_sel:WORD_1
	v_pk_add_f32 v[64:65], v[64:65], v[98:99]
	v_pk_fma_f32 v[10:11], v[64:65], v[20:21], v[10:11]
	v_cvt_f32_f16_e32 v65, v3
	v_cvt_f32_f16_e32 v64, v2
	v_cvt_f32_f16_sdwa v3, v3 dst_sel:DWORD dst_unused:UNUSED_PAD src0_sel:WORD_1
	v_cvt_f32_f16_sdwa v2, v2 dst_sel:DWORD dst_unused:UNUSED_PAD src0_sel:WORD_1
	v_pk_add_f32 v[2:3], v[64:65], v[2:3]
	v_pk_fma_f32 v[2:3], v[2:3], v[20:21], v[10:11]
	v_cvt_f32_f16_e32 v11, v79
	v_cvt_f32_f16_e32 v10, v68
	v_cvt_f32_f16_sdwa v65, v79 dst_sel:DWORD dst_unused:UNUSED_PAD src0_sel:WORD_1
	v_cvt_f32_f16_sdwa v64, v68 dst_sel:DWORD dst_unused:UNUSED_PAD src0_sel:WORD_1
	v_pk_add_f32 v[10:11], v[10:11], v[64:65]
	v_pk_fma_f32 v[10:11], v[10:11], v[20:21], v[2:3]
	v_pk_fma_f16 v2, v32, v66, 0
	v_pk_fma_f16 v2, v33, v67, v2
	;; [unrolled: 1-line block ×8, first 2 shown]
	v_cvt_f32_f16_e32 v3, v61
	v_cvt_f32_f16_e32 v2, v59
	v_cvt_f32_f16_sdwa v65, v61 dst_sel:DWORD dst_unused:UNUSED_PAD src0_sel:WORD_1
	v_cvt_f32_f16_sdwa v64, v59 dst_sel:DWORD dst_unused:UNUSED_PAD src0_sel:WORD_1
	;; [unrolled: 1-line block ×3, first 2 shown]
	v_pk_add_f32 v[2:3], v[2:3], v[64:65]
	v_pk_fma_f32 v[2:3], v[2:3], v[24:25], v[6:7]
	v_cvt_f32_f16_e32 v7, v96
	v_cvt_f32_f16_e32 v6, v95
	v_cvt_f32_f16_sdwa v65, v96 dst_sel:DWORD dst_unused:UNUSED_PAD src0_sel:WORD_1
	v_cvt_f32_f16_sdwa v64, v95 dst_sel:DWORD dst_unused:UNUSED_PAD src0_sel:WORD_1
	v_pk_add_f32 v[6:7], v[6:7], v[64:65]
	v_pk_fma_f32 v[2:3], v[6:7], v[24:25], v[2:3]
	v_cvt_f32_f16_e32 v7, v1
	v_cvt_f32_f16_e32 v6, v0
	v_cvt_f32_f16_sdwa v1, v1 dst_sel:DWORD dst_unused:UNUSED_PAD src0_sel:WORD_1
	v_cvt_f32_f16_sdwa v0, v0 dst_sel:DWORD dst_unused:UNUSED_PAD src0_sel:WORD_1
	v_cvt_f32_f16_e32 v65, v51
	v_cvt_f32_f16_e32 v64, v50
	v_cvt_f32_f16_sdwa v51, v51 dst_sel:DWORD dst_unused:UNUSED_PAD src0_sel:WORD_1
	v_pk_add_f32 v[0:1], v[6:7], v[0:1]
	v_pk_fma_f32 v[0:1], v[0:1], v[24:25], v[2:3]
	v_cvt_f32_f16_e32 v3, v66
	v_cvt_f32_f16_e32 v2, v63
	v_cvt_f32_f16_sdwa v7, v66 dst_sel:DWORD dst_unused:UNUSED_PAD src0_sel:WORD_1
	v_cvt_f32_f16_sdwa v6, v63 dst_sel:DWORD dst_unused:UNUSED_PAD src0_sel:WORD_1
	;; [unrolled: 1-line block ×3, first 2 shown]
	v_pk_add_f32 v[2:3], v[2:3], v[6:7]
	v_pk_fma_f32 v[6:7], v[2:3], v[24:25], v[0:1]
	ds_read2_b32 v[0:1], v52 offset0:204 offset1:205
	v_pk_add_f32 v[50:51], v[64:65], v[50:51]
	v_pk_fma_f32 v[18:19], v[50:51], v[20:21], v[18:19]
	v_cvt_f32_f16_e32 v51, v62
	v_cvt_f32_f16_e32 v50, v60
	s_waitcnt lgkmcnt(0)
	v_pk_fma_f16 v2, v90, v0, 0
	v_cvt_f32_f16_sdwa v60, v60 dst_sel:DWORD dst_unused:UNUSED_PAD src0_sel:WORD_1
	v_pk_fma_f16 v59, v89, v1, v2
	ds_read2_b32 v[2:3], v52 offset0:206 offset1:207
	v_pk_add_f32 v[50:51], v[50:51], v[60:61]
	v_pk_fma_f32 v[18:19], v[50:51], v[20:21], v[18:19]
	v_cvt_f32_f16_e32 v51, v94
	v_cvt_f32_f16_e32 v50, v93
	v_cvt_f32_f16_sdwa v61, v94 dst_sel:DWORD dst_unused:UNUSED_PAD src0_sel:WORD_1
	v_cvt_f32_f16_sdwa v60, v93 dst_sel:DWORD dst_unused:UNUSED_PAD src0_sel:WORD_1
	s_waitcnt lgkmcnt(0)
	v_pk_fma_f16 v52, v80, v2, v59
	v_pk_fma_f16 v59, v84, v0, 0
	;; [unrolled: 1-line block ×6, first 2 shown]
	v_pk_add_f32 v[50:51], v[50:51], v[60:61]
	v_pk_fma_f32 v[18:19], v[50:51], v[20:21], v[18:19]
	v_cvt_f32_f16_e32 v51, v59
	v_cvt_f32_f16_e32 v50, v52
	v_cvt_f32_f16_sdwa v61, v59 dst_sel:DWORD dst_unused:UNUSED_PAD src0_sel:WORD_1
	v_cvt_f32_f16_sdwa v60, v52 dst_sel:DWORD dst_unused:UNUSED_PAD src0_sel:WORD_1
	v_pk_add_f32 v[50:51], v[50:51], v[60:61]
	v_pk_fma_f32 v[18:19], v[50:51], v[20:21], v[18:19]
	v_pk_fma_f16 v50, v32, v0, 0
	v_pk_fma_f16 v0, v75, v0, 0
	v_pk_fma_f16 v50, v33, v1, v50
	v_pk_fma_f16 v0, v76, v1, v0
	v_pk_fma_f16 v50, v73, v2, v50
	v_pk_fma_f16 v0, v77, v2, v0
	v_pk_fma_f16 v50, v74, v3, v50
	v_pk_fma_f16 v51, v78, v3, v0
	v_cvt_f32_f16_e32 v1, v49
	v_cvt_f32_f16_e32 v0, v48
	v_cvt_f32_f16_sdwa v3, v49 dst_sel:DWORD dst_unused:UNUSED_PAD src0_sel:WORD_1
	v_cvt_f32_f16_sdwa v2, v48 dst_sel:DWORD dst_unused:UNUSED_PAD src0_sel:WORD_1
	v_cvt_f32_f16_e32 v49, v47
	v_cvt_f32_f16_sdwa v47, v47 dst_sel:DWORD dst_unused:UNUSED_PAD src0_sel:WORD_1
	v_pk_add_f32 v[0:1], v[0:1], v[2:3]
	v_pk_fma_f32 v[0:1], v[0:1], v[24:25], v[12:13]
	v_cvt_f32_f16_e32 v3, v58
	v_cvt_f32_f16_e32 v2, v57
	v_cvt_f32_f16_sdwa v13, v58 dst_sel:DWORD dst_unused:UNUSED_PAD src0_sel:WORD_1
	v_cvt_f32_f16_sdwa v12, v57 dst_sel:DWORD dst_unused:UNUSED_PAD src0_sel:WORD_1
	v_pk_add_f32 v[2:3], v[2:3], v[12:13]
	v_pk_fma_f32 v[0:1], v[2:3], v[24:25], v[0:1]
	v_cvt_f32_f16_e32 v3, v88
	v_cvt_f32_f16_e32 v2, v83
	v_cvt_f32_f16_sdwa v13, v88 dst_sel:DWORD dst_unused:UNUSED_PAD src0_sel:WORD_1
	;; [unrolled: 6-line block ×3, first 2 shown]
	v_cvt_f32_f16_sdwa v12, v50 dst_sel:DWORD dst_unused:UNUSED_PAD src0_sel:WORD_1
	v_pk_add_f32 v[2:3], v[2:3], v[12:13]
	v_pk_fma_f32 v[12:13], v[2:3], v[24:25], v[0:1]
	v_mov_b32_e32 v0, s11
	ds_read2_b32 v[0:1], v0 offset1:1
	s_add_i32 s11, s4, 0x438
	s_add_i32 s4, s4, 64
	s_cmp_ge_i32 s24, s25
	s_waitcnt lgkmcnt(0)
	v_pk_fma_f16 v2, v90, v0, 0
	v_pk_fma_f16 v48, v89, v1, v2
	v_mov_b32_e32 v2, s11
	ds_read2_b32 v[2:3], v2 offset1:1
	v_pk_fma_f16 v32, v32, v0, 0
	v_pk_fma_f16 v32, v33, v1, v32
	s_waitcnt lgkmcnt(0)
	v_pk_fma_f16 v48, v80, v2, v48
	v_pk_fma_f16 v50, v81, v3, v48
	;; [unrolled: 1-line block ×12, first 2 shown]
	v_cvt_f32_f16_e32 v1, v45
	v_cvt_f32_f16_e32 v0, v44
	v_cvt_f32_f16_sdwa v3, v45 dst_sel:DWORD dst_unused:UNUSED_PAD src0_sel:WORD_1
	v_cvt_f32_f16_sdwa v2, v44 dst_sel:DWORD dst_unused:UNUSED_PAD src0_sel:WORD_1
	v_cvt_f32_f16_e32 v48, v46
	v_cvt_f32_f16_sdwa v46, v46 dst_sel:DWORD dst_unused:UNUSED_PAD src0_sel:WORD_1
	v_pk_add_f32 v[0:1], v[0:1], v[2:3]
	v_pk_fma_f32 v[0:1], v[0:1], v[24:25], v[8:9]
	v_pk_add_f32 v[46:47], v[48:49], v[46:47]
	v_cvt_f32_f16_e32 v3, v54
	v_cvt_f32_f16_e32 v2, v53
	v_cvt_f32_f16_sdwa v9, v54 dst_sel:DWORD dst_unused:UNUSED_PAD src0_sel:WORD_1
	v_cvt_f32_f16_sdwa v8, v53 dst_sel:DWORD dst_unused:UNUSED_PAD src0_sel:WORD_1
	v_pk_fma_f32 v[16:17], v[46:47], v[20:21], v[16:17]
	v_cvt_f32_f16_e32 v47, v56
	v_cvt_f32_f16_e32 v46, v55
	v_cvt_f32_f16_sdwa v49, v56 dst_sel:DWORD dst_unused:UNUSED_PAD src0_sel:WORD_1
	v_cvt_f32_f16_sdwa v48, v55 dst_sel:DWORD dst_unused:UNUSED_PAD src0_sel:WORD_1
	v_pk_add_f32 v[2:3], v[2:3], v[8:9]
	v_pk_fma_f32 v[0:1], v[2:3], v[24:25], v[0:1]
	v_cvt_f32_f16_e32 v3, v70
	v_pk_add_f32 v[46:47], v[46:47], v[48:49]
	v_cvt_f32_f16_e32 v2, v69
	v_cvt_f32_f16_sdwa v9, v70 dst_sel:DWORD dst_unused:UNUSED_PAD src0_sel:WORD_1
	v_cvt_f32_f16_sdwa v8, v69 dst_sel:DWORD dst_unused:UNUSED_PAD src0_sel:WORD_1
	v_pk_fma_f32 v[16:17], v[46:47], v[20:21], v[16:17]
	v_cvt_f32_f16_e32 v47, v72
	v_cvt_f32_f16_e32 v46, v71
	v_cvt_f32_f16_sdwa v49, v72 dst_sel:DWORD dst_unused:UNUSED_PAD src0_sel:WORD_1
	v_cvt_f32_f16_sdwa v48, v71 dst_sel:DWORD dst_unused:UNUSED_PAD src0_sel:WORD_1
	v_pk_add_f32 v[2:3], v[2:3], v[8:9]
	v_pk_fma_f32 v[0:1], v[2:3], v[24:25], v[0:1]
	v_cvt_f32_f16_e32 v3, v33
	v_pk_add_f32 v[46:47], v[46:47], v[48:49]
	v_cvt_f32_f16_e32 v2, v32
	v_cvt_f32_f16_sdwa v9, v33 dst_sel:DWORD dst_unused:UNUSED_PAD src0_sel:WORD_1
	v_cvt_f32_f16_sdwa v8, v32 dst_sel:DWORD dst_unused:UNUSED_PAD src0_sel:WORD_1
	v_pk_fma_f32 v[16:17], v[46:47], v[20:21], v[16:17]
	v_cvt_f32_f16_e32 v47, v51
	v_cvt_f32_f16_e32 v46, v50
	v_cvt_f32_f16_sdwa v49, v51 dst_sel:DWORD dst_unused:UNUSED_PAD src0_sel:WORD_1
	v_cvt_f32_f16_sdwa v48, v50 dst_sel:DWORD dst_unused:UNUSED_PAD src0_sel:WORD_1
	v_pk_add_f32 v[2:3], v[2:3], v[8:9]
	v_pk_fma_f32 v[8:9], v[2:3], v[24:25], v[0:1]
	v_mov_b32_e32 v0, s1
	v_pk_add_f32 v[46:47], v[46:47], v[48:49]
	v_pk_fma_f32 v[16:17], v[46:47], v[20:21], v[16:17]
	v_addc_co_u32_e32 v15, vcc, v15, v0, vcc
	s_cbranch_scc1 .LBB33_18
.LBB33_16:                              ; =>This Inner Loop Header: Depth=1
	s_cmp_lg_u32 s24, s10
	s_cbranch_scc1 .LBB33_15
; %bb.17:                               ;   in Loop: Header=BB33_16 Depth=1
	s_add_i32 s6, s6, 1
	s_mul_i32 s11, s6, s20
	s_ashr_i32 s12, s11, 31
	s_lshr_b32 s12, s12, 29
	s_add_i32 s12, s11, s12
	v_add_u32_e32 v2, s11, v4
	s_ashr_i32 s12, s12, 3
	v_ashrrev_i32_e32 v3, 31, v2
	v_add_u32_e32 v0, s12, v34
	v_lshlrev_b64 v[2:3], 1, v[2:3]
	v_ashrrev_i32_e32 v1, 31, v0
	v_mov_b32_e32 v21, s17
	v_add_co_u32_e32 v2, vcc, s16, v2
	v_lshlrev_b64 v[0:1], 2, v[0:1]
	v_addc_co_u32_e32 v3, vcc, v21, v3, vcc
	v_mov_b32_e32 v20, s15
	v_add_co_u32_e32 v0, vcc, s14, v0
	v_addc_co_u32_e32 v1, vcc, v20, v1, vcc
	global_load_dword v0, v[0:1], off
	s_add_i32 s10, s10, s5
	global_load_dwordx2 v[2:3], v[2:3], off
	s_waitcnt vmcnt(1)
	v_lshrrev_b32_e32 v1, v35, v0
	v_bfe_u32 v0, v0, v35, 4
	s_waitcnt vmcnt(0)
	v_cvt_f32_f16_e32 v20, v2
	v_cvt_f32_f16_sdwa v21, v2 dst_sel:DWORD dst_unused:UNUSED_PAD src0_sel:WORD_1
	v_cvt_f32_f16_e32 v24, v3
	v_cvt_f32_f16_sdwa v25, v3 dst_sel:DWORD dst_unused:UNUSED_PAD src0_sel:WORD_1
	v_bfe_u32 v2, v1, 4, 4
	v_bfe_u32 v3, v1, 8, 4
	;; [unrolled: 1-line block ×3, first 2 shown]
	v_add_u32_e32 v0, v0, v5
	v_or_b32_e32 v32, 0xffffe400, v0
	v_cvt_f32_ubyte0_e32 v0, v0
	v_add_u32_e32 v2, v2, v5
	v_add_u32_e32 v3, v3, v5
	;; [unrolled: 1-line block ×3, first 2 shown]
	v_cvt_f16_f32_e32 v0, v0
	v_perm_b32 v36, v32, v32, s8
	v_or_b32_e32 v32, 0xffffe400, v2
	v_cvt_f32_ubyte0_e32 v2, v2
	v_or_b32_e32 v33, 0xffffe400, v3
	v_cvt_f32_ubyte0_e32 v3, v3
	;; [unrolled: 2-line block ×3, first 2 shown]
	v_cvt_f16_f32_e32 v2, v2
	v_cvt_f16_f32_e32 v3, v3
	;; [unrolled: 1-line block ×3, first 2 shown]
	v_sub_f16_e32 v0, 0xd400, v0
	v_pack_b32_f16 v40, v0, v0
	v_sub_f16_e32 v0, 0xd400, v2
	v_sub_f16_e32 v2, 0xd400, v3
	;; [unrolled: 1-line block ×3, first 2 shown]
	v_perm_b32 v37, v32, v32, s8
	v_perm_b32 v38, v33, v33, s8
	;; [unrolled: 1-line block ×3, first 2 shown]
	v_pack_b32_f16 v41, v0, v0
	v_pack_b32_f16 v42, v2, v2
	;; [unrolled: 1-line block ×3, first 2 shown]
	s_branch .LBB33_15
.LBB33_18:
	v_cvt_f16_f32_e32 v0, v31
	v_cvt_f16_f32_e32 v1, v30
	;; [unrolled: 1-line block ×5, first 2 shown]
	v_pack_b32_f16 v21, v1, v0
	v_cvt_f16_f32_e32 v0, v27
	v_pack_b32_f16 v20, v3, v2
	v_cvt_f16_f32_e32 v1, v26
	v_cvt_f16_f32_e32 v2, v23
	;; [unrolled: 1-line block ×6, first 2 shown]
	v_pack_b32_f16 v15, v1, v0
	v_pack_b32_f16 v14, v3, v2
	;; [unrolled: 1-line block ×4, first 2 shown]
	v_cvt_f16_f32_e32 v0, v19
	v_cvt_f16_f32_e32 v1, v18
	;; [unrolled: 1-line block ×8, first 2 shown]
	v_pack_b32_f16 v9, v1, v0
	v_pack_b32_f16 v8, v3, v2
	;; [unrolled: 1-line block ×4, first 2 shown]
.LBB33_19:
	s_mul_i32 s7, s7, s20
	v_add_u32_e32 v0, s7, v4
	v_ashrrev_i32_e32 v1, 31, v0
	v_lshlrev_b64 v[2:3], 1, v[0:1]
	v_mov_b32_e32 v1, s19
	v_add_co_u32_e32 v2, vcc, s18, v2
	v_addc_co_u32_e32 v3, vcc, v1, v3, vcc
	global_load_dword v5, v[2:3], off
	s_mov_b64 s[0:1], 0
.LBB33_20:                              ; =>This Inner Loop Header: Depth=1
	s_waitcnt vmcnt(0)
	v_pk_add_f16 v4, v21, v5
	global_atomic_cmpswap v1, v[2:3], v[4:5], off glc
	s_waitcnt vmcnt(0)
	v_cmp_eq_u32_e32 vcc, v5, v1
	s_or_b64 s[0:1], vcc, s[0:1]
	v_mov_b32_e32 v5, v1
	s_andn2_b64 exec, exec, s[0:1]
	s_cbranch_execnz .LBB33_20
; %bb.21:
	s_or_b64 exec, exec, s[0:1]
	global_load_dword v5, v[2:3], off offset:4
	s_mov_b64 s[0:1], 0
.LBB33_22:                              ; =>This Inner Loop Header: Depth=1
	s_waitcnt vmcnt(0)
	v_pk_add_f16 v4, v20, v5
	global_atomic_cmpswap v1, v[2:3], v[4:5], off offset:4 glc
	s_waitcnt vmcnt(0)
	v_cmp_eq_u32_e32 vcc, v5, v1
	s_or_b64 s[0:1], vcc, s[0:1]
	v_mov_b32_e32 v5, v1
	s_andn2_b64 exec, exec, s[0:1]
	s_cbranch_execnz .LBB33_22
; %bb.23:
	s_or_b64 exec, exec, s[0:1]
	v_add_u32_e32 v0, s20, v0
	v_ashrrev_i32_e32 v1, 31, v0
	v_lshlrev_b64 v[2:3], 1, v[0:1]
	v_mov_b32_e32 v1, s19
	v_add_co_u32_e32 v2, vcc, s18, v2
	v_addc_co_u32_e32 v3, vcc, v1, v3, vcc
	global_load_dword v5, v[2:3], off
	s_mov_b64 s[0:1], 0
.LBB33_24:                              ; =>This Inner Loop Header: Depth=1
	s_waitcnt vmcnt(0)
	v_pk_add_f16 v4, v15, v5
	global_atomic_cmpswap v1, v[2:3], v[4:5], off glc
	s_waitcnt vmcnt(0)
	v_cmp_eq_u32_e32 vcc, v5, v1
	s_or_b64 s[0:1], vcc, s[0:1]
	v_mov_b32_e32 v5, v1
	s_andn2_b64 exec, exec, s[0:1]
	s_cbranch_execnz .LBB33_24
; %bb.25:
	s_or_b64 exec, exec, s[0:1]
	global_load_dword v5, v[2:3], off offset:4
	s_mov_b64 s[0:1], 0
.LBB33_26:                              ; =>This Inner Loop Header: Depth=1
	s_waitcnt vmcnt(0)
	v_pk_add_f16 v4, v14, v5
	global_atomic_cmpswap v1, v[2:3], v[4:5], off offset:4 glc
	s_waitcnt vmcnt(0)
	v_cmp_eq_u32_e32 vcc, v5, v1
	s_or_b64 s[0:1], vcc, s[0:1]
	v_mov_b32_e32 v5, v1
	s_andn2_b64 exec, exec, s[0:1]
	s_cbranch_execnz .LBB33_26
; %bb.27:
	s_or_b64 exec, exec, s[0:1]
	;; [unrolled: 34-line block ×4, first 2 shown]
	v_add_u32_e32 v0, s20, v0
	v_ashrrev_i32_e32 v1, 31, v0
	v_lshlrev_b64 v[0:1], 1, v[0:1]
	v_mov_b32_e32 v2, s19
	v_add_co_u32_e32 v0, vcc, s18, v0
	v_addc_co_u32_e32 v1, vcc, v2, v1, vcc
	global_load_dword v3, v[0:1], off
	s_mov_b64 s[0:1], 0
.LBB33_36:                              ; =>This Inner Loop Header: Depth=1
	s_waitcnt vmcnt(0)
	v_pk_add_f16 v2, v7, v3
	global_atomic_cmpswap v2, v[0:1], v[2:3], off glc
	s_waitcnt vmcnt(0)
	v_cmp_eq_u32_e32 vcc, v3, v2
	s_or_b64 s[0:1], vcc, s[0:1]
	v_mov_b32_e32 v3, v2
	s_andn2_b64 exec, exec, s[0:1]
	s_cbranch_execnz .LBB33_36
; %bb.37:
	s_or_b64 exec, exec, s[0:1]
	global_load_dword v3, v[0:1], off offset:4
	s_mov_b64 s[0:1], 0
.LBB33_38:                              ; =>This Inner Loop Header: Depth=1
	s_waitcnt vmcnt(0)
	v_pk_add_f16 v2, v6, v3
	global_atomic_cmpswap v2, v[0:1], v[2:3], off offset:4 glc
	s_waitcnt vmcnt(0)
	v_cmp_eq_u32_e32 vcc, v3, v2
	s_or_b64 s[0:1], vcc, s[0:1]
	v_mov_b32_e32 v3, v2
	s_andn2_b64 exec, exec, s[0:1]
	s_cbranch_execnz .LBB33_38
.LBB33_39:
	s_endpgm
	.section	.rodata,"a",@progbits
	.p2align	6, 0x0
	.amdhsa_kernel _ZN4vllm4gptq33gemm_half_q_half_gptq_4bit_kernelILb1ELi5EEEvPK6__halfPKjS6_S4_PS2_iiiibPKi
		.amdhsa_group_segment_fixed_size 1280
		.amdhsa_private_segment_fixed_size 0
		.amdhsa_kernarg_size 72
		.amdhsa_user_sgpr_count 6
		.amdhsa_user_sgpr_private_segment_buffer 1
		.amdhsa_user_sgpr_dispatch_ptr 0
		.amdhsa_user_sgpr_queue_ptr 0
		.amdhsa_user_sgpr_kernarg_segment_ptr 1
		.amdhsa_user_sgpr_dispatch_id 0
		.amdhsa_user_sgpr_flat_scratch_init 0
		.amdhsa_user_sgpr_kernarg_preload_length 0
		.amdhsa_user_sgpr_kernarg_preload_offset 0
		.amdhsa_user_sgpr_private_segment_size 0
		.amdhsa_uses_dynamic_stack 0
		.amdhsa_system_sgpr_private_segment_wavefront_offset 0
		.amdhsa_system_sgpr_workgroup_id_x 1
		.amdhsa_system_sgpr_workgroup_id_y 1
		.amdhsa_system_sgpr_workgroup_id_z 1
		.amdhsa_system_sgpr_workgroup_info 0
		.amdhsa_system_vgpr_workitem_id 0
		.amdhsa_next_free_vgpr 126
		.amdhsa_next_free_sgpr 26
		.amdhsa_accum_offset 128
		.amdhsa_reserve_vcc 1
		.amdhsa_reserve_flat_scratch 0
		.amdhsa_float_round_mode_32 0
		.amdhsa_float_round_mode_16_64 0
		.amdhsa_float_denorm_mode_32 3
		.amdhsa_float_denorm_mode_16_64 3
		.amdhsa_dx10_clamp 1
		.amdhsa_ieee_mode 1
		.amdhsa_fp16_overflow 0
		.amdhsa_tg_split 0
		.amdhsa_exception_fp_ieee_invalid_op 0
		.amdhsa_exception_fp_denorm_src 0
		.amdhsa_exception_fp_ieee_div_zero 0
		.amdhsa_exception_fp_ieee_overflow 0
		.amdhsa_exception_fp_ieee_underflow 0
		.amdhsa_exception_fp_ieee_inexact 0
		.amdhsa_exception_int_div_zero 0
	.end_amdhsa_kernel
	.section	.text._ZN4vllm4gptq33gemm_half_q_half_gptq_4bit_kernelILb1ELi5EEEvPK6__halfPKjS6_S4_PS2_iiiibPKi,"axG",@progbits,_ZN4vllm4gptq33gemm_half_q_half_gptq_4bit_kernelILb1ELi5EEEvPK6__halfPKjS6_S4_PS2_iiiibPKi,comdat
.Lfunc_end33:
	.size	_ZN4vllm4gptq33gemm_half_q_half_gptq_4bit_kernelILb1ELi5EEEvPK6__halfPKjS6_S4_PS2_iiiibPKi, .Lfunc_end33-_ZN4vllm4gptq33gemm_half_q_half_gptq_4bit_kernelILb1ELi5EEEvPK6__halfPKjS6_S4_PS2_iiiibPKi
                                        ; -- End function
	.section	.AMDGPU.csdata,"",@progbits
; Kernel info:
; codeLenInByte = 9108
; NumSgprs: 30
; NumVgprs: 126
; NumAgprs: 0
; TotalNumVgprs: 126
; ScratchSize: 0
; MemoryBound: 0
; FloatMode: 240
; IeeeMode: 1
; LDSByteSize: 1280 bytes/workgroup (compile time only)
; SGPRBlocks: 3
; VGPRBlocks: 15
; NumSGPRsForWavesPerEU: 30
; NumVGPRsForWavesPerEU: 126
; AccumOffset: 128
; Occupancy: 4
; WaveLimiterHint : 0
; COMPUTE_PGM_RSRC2:SCRATCH_EN: 0
; COMPUTE_PGM_RSRC2:USER_SGPR: 6
; COMPUTE_PGM_RSRC2:TRAP_HANDLER: 0
; COMPUTE_PGM_RSRC2:TGID_X_EN: 1
; COMPUTE_PGM_RSRC2:TGID_Y_EN: 1
; COMPUTE_PGM_RSRC2:TGID_Z_EN: 1
; COMPUTE_PGM_RSRC2:TIDIG_COMP_CNT: 0
; COMPUTE_PGM_RSRC3_GFX90A:ACCUM_OFFSET: 31
; COMPUTE_PGM_RSRC3_GFX90A:TG_SPLIT: 0
	.section	.text._ZN4vllm4gptq33gemm_half_q_half_gptq_8bit_kernelILb1ELi5EEEvPK6__halfPKjS6_S4_PS2_iiiibPKi,"axG",@progbits,_ZN4vllm4gptq33gemm_half_q_half_gptq_8bit_kernelILb1ELi5EEEvPK6__halfPKjS6_S4_PS2_iiiibPKi,comdat
	.protected	_ZN4vllm4gptq33gemm_half_q_half_gptq_8bit_kernelILb1ELi5EEEvPK6__halfPKjS6_S4_PS2_iiiibPKi ; -- Begin function _ZN4vllm4gptq33gemm_half_q_half_gptq_8bit_kernelILb1ELi5EEEvPK6__halfPKjS6_S4_PS2_iiiibPKi
	.globl	_ZN4vllm4gptq33gemm_half_q_half_gptq_8bit_kernelILb1ELi5EEEvPK6__halfPKjS6_S4_PS2_iiiibPKi
	.p2align	8
	.type	_ZN4vllm4gptq33gemm_half_q_half_gptq_8bit_kernelILb1ELi5EEEvPK6__halfPKjS6_S4_PS2_iiiibPKi,@function
_ZN4vllm4gptq33gemm_half_q_half_gptq_8bit_kernelILb1ELi5EEEvPK6__halfPKjS6_S4_PS2_iiiibPKi: ; @_ZN4vllm4gptq33gemm_half_q_half_gptq_8bit_kernelILb1ELi5EEEvPK6__halfPKjS6_S4_PS2_iiiibPKi
; %bb.0:
	s_mov_b64 s[30:31], s[2:3]
	s_load_dwordx8 s[12:19], s[4:5], 0x8
	s_load_dwordx4 s[20:23], s[4:5], 0x2c
	s_mov_b64 s[28:29], s[0:1]
	s_add_u32 s28, s28, s9
	s_addc_u32 s29, s29, 0
	s_lshl_b32 s24, s8, 7
	s_add_i32 s0, s24, 0x80
	v_cvt_f64_u32_e32 v[2:3], s0
	s_waitcnt lgkmcnt(0)
	v_cvt_f64_i32_e32 v[4:5], s21
	v_min_f64 v[2:3], v[2:3], v[4:5]
	v_cvt_i32_f64_e32 v1, v[2:3]
	v_add_u32_e32 v2, s24, v0
	s_mul_i32 s7, s7, 5
	v_readfirstlane_b32 s25, v1
	v_cmp_lt_u32_e32 vcc, v2, v1
	s_and_saveexec_b64 s[2:3], vcc
	s_cbranch_execz .LBB34_12
; %bb.1:
	s_load_dwordx2 s[0:1], s[4:5], 0x40
	s_load_dwordx2 s[8:9], s[4:5], 0x0
	v_mov_b32_e32 v3, 0
	v_lshlrev_b64 v[4:5], 2, v[2:3]
	v_pk_mov_b32 v[6:7], v[2:3], v[2:3] op_sel:[0,1]
	s_waitcnt lgkmcnt(0)
	s_cmp_lg_u64 s[0:1], 0
	v_mov_b32_e32 v1, s1
	v_add_co_u32_e32 v4, vcc, s0, v4
	s_cselect_b64 s[4:5], -1, 0
	s_cmp_eq_u64 s[0:1], 0
	v_addc_co_u32_e32 v5, vcc, v1, v5, vcc
	s_cbranch_scc1 .LBB34_3
; %bb.2:
	global_load_dword v6, v[4:5], off
	s_waitcnt vmcnt(0)
	v_ashrrev_i32_e32 v7, 31, v6
.LBB34_3:
	s_mul_i32 s10, s7, s21
	s_ashr_i32 s11, s10, 31
	s_lshl_b64 s[0:1], s[10:11], 1
	s_add_u32 s0, s8, s0
	s_addc_u32 s1, s9, s1
	v_lshlrev_b64 v[6:7], 1, v[6:7]
	v_mov_b32_e32 v1, s1
	v_add_co_u32_e32 v6, vcc, s0, v6
	v_addc_co_u32_e32 v7, vcc, v1, v7, vcc
	global_load_ushort v6, v[6:7], off
	v_lshlrev_b32_e32 v1, 1, v0
	v_cndmask_b32_e64 v7, 0, 1, s[4:5]
	v_cmp_ne_u32_e64 s[0:1], 1, v7
	s_andn2_b64 vcc, exec, s[4:5]
	s_waitcnt vmcnt(0)
	ds_write_b16 v1, v6
	v_pk_mov_b32 v[6:7], v[2:3], v[2:3] op_sel:[0,1]
	s_cbranch_vccnz .LBB34_5
; %bb.4:
	global_load_dword v6, v[4:5], off
	s_waitcnt vmcnt(0)
	v_ashrrev_i32_e32 v7, 31, v6
.LBB34_5:
	s_add_i32 s4, s10, s21
	s_ashr_i32 s5, s4, 31
	s_lshl_b64 s[10:11], s[4:5], 1
	s_add_u32 s5, s8, s10
	s_addc_u32 s10, s9, s11
	v_lshlrev_b64 v[6:7], 1, v[6:7]
	v_mov_b32_e32 v8, s10
	v_add_co_u32_e32 v6, vcc, s5, v6
	v_addc_co_u32_e32 v7, vcc, v8, v7, vcc
	global_load_ushort v6, v[6:7], off
	s_and_b64 vcc, exec, s[0:1]
	s_waitcnt vmcnt(0)
	ds_write_b16 v1, v6 offset:256
	v_pk_mov_b32 v[6:7], v[2:3], v[2:3] op_sel:[0,1]
	s_cbranch_vccnz .LBB34_7
; %bb.6:
	global_load_dword v6, v[4:5], off
	s_waitcnt vmcnt(0)
	v_ashrrev_i32_e32 v7, 31, v6
.LBB34_7:
	s_add_i32 s4, s4, s21
	s_ashr_i32 s5, s4, 31
	s_lshl_b64 s[10:11], s[4:5], 1
	s_add_u32 s5, s8, s10
	s_addc_u32 s10, s9, s11
	v_lshlrev_b64 v[6:7], 1, v[6:7]
	v_mov_b32_e32 v8, s10
	v_add_co_u32_e32 v6, vcc, s5, v6
	v_addc_co_u32_e32 v7, vcc, v8, v7, vcc
	global_load_ushort v6, v[6:7], off
	s_and_b64 vcc, exec, s[0:1]
	s_waitcnt vmcnt(0)
	ds_write_b16 v1, v6 offset:512
	;; [unrolled: 20-line block ×3, first 2 shown]
	s_cbranch_vccnz .LBB34_11
; %bb.10:
	global_load_dword v2, v[4:5], off
	s_waitcnt vmcnt(0)
	v_ashrrev_i32_e32 v3, 31, v2
.LBB34_11:
	s_add_i32 s0, s4, s21
	s_ashr_i32 s1, s0, 31
	s_lshl_b64 s[0:1], s[0:1], 1
	s_add_u32 s0, s8, s0
	s_addc_u32 s1, s9, s1
	v_lshlrev_b64 v[2:3], 1, v[2:3]
	v_mov_b32_e32 v4, s1
	v_add_co_u32_e32 v2, vcc, s0, v2
	v_addc_co_u32_e32 v3, vcc, v4, v3, vcc
	global_load_ushort v2, v[2:3], off
	s_waitcnt vmcnt(0)
	ds_write_b16 v1, v2 offset:1024
.LBB34_12:
	s_or_b64 exec, exec, s[2:3]
	v_lshlrev_b32_e32 v0, 2, v0
	v_lshl_add_u32 v2, s6, 9, v0
	v_mov_b32_e32 v0, v2
	v_cmp_gt_i32_e32 vcc, s20, v2
	buffer_store_dword v0, off, s[28:31], 0 offset:228 ; 4-byte Folded Spill
	s_nop 0
	buffer_store_dword v1, off, s[28:31], 0 offset:232 ; 4-byte Folded Spill
	s_and_saveexec_b64 s[0:1], vcc
	s_cbranch_execz .LBB34_39
; %bb.13:
	s_abs_i32 s0, s22
	v_cvt_f32_u32_e32 v0, s0
	s_mov_b32 s2, 0
	v_mov_b32_e32 v79, 0
	v_mov_b32_e32 v78, 0
	v_rcp_iflag_f32_e32 v0, v0
	v_mov_b32_e32 v71, 0
	v_mov_b32_e32 v70, 0
	s_cmp_ge_i32 s24, s25
	v_mul_f32_e32 v0, 0x4f7ffffe, v0
	v_cvt_u32_f32_e32 v0, v0
	v_mov_b32_e32 v68, 0
	v_mov_b32_e32 v105, 0
	;; [unrolled: 1-line block ×3, first 2 shown]
	v_readfirstlane_b32 s1, v0
	v_mov_b32_e32 v6, 0
	v_mov_b32_e32 v103, 0
	;; [unrolled: 1-line block ×3, first 2 shown]
	s_waitcnt lgkmcnt(0)
	s_barrier
	s_cbranch_scc1 .LBB34_19
; %bb.14:
	buffer_load_dword v2, off, s[28:31], 0 offset:228 ; 4-byte Folded Reload
	buffer_load_dword v3, off, s[28:31], 0 offset:232 ; 4-byte Folded Reload
	s_sub_i32 s6, 0, s0
	s_mul_i32 s6, s6, s1
	s_mul_hi_u32 s6, s1, s6
	s_abs_i32 s5, s21
	s_add_i32 s1, s1, s6
	s_ashr_i32 s3, s21, 31
	s_ashr_i32 s4, s22, 31
	s_mul_hi_u32 s1, s5, s1
	s_xor_b32 s3, s3, s4
	s_mul_i32 s4, s1, s0
	s_sub_i32 s4, s5, s4
	s_add_i32 s5, s1, 1
	s_sub_i32 s6, s4, s0
	s_cmp_ge_u32 s4, s0
	s_cselect_b32 s1, s5, s1
	s_cselect_b32 s4, s6, s4
	s_add_i32 s5, s1, 1
	s_cmp_ge_u32 s4, s0
	s_cselect_b32 s0, s5, s1
	s_xor_b32 s0, s0, s3
	s_sub_i32 s3, s0, s3
	v_cvt_f32_u32_e32 v0, s3
	s_bitcmp1_b32 s23, 0
	s_cselect_b64 s[0:1], -1, 0
	s_sub_i32 s4, 0, s3
	v_rcp_iflag_f32_e32 v0, v0
	s_xor_b64 s[0:1], s[0:1], -1
	v_mov_b32_e32 v4, s17
	v_mov_b32_e32 v103, 0
	v_mul_f32_e32 v0, 0x4f7ffffe, v0
	v_cvt_u32_f32_e32 v0, v0
	v_mov_b32_e32 v80, 0
	v_mov_b32_e32 v105, 0
	;; [unrolled: 1-line block ×3, first 2 shown]
	v_readfirstlane_b32 s5, v0
	s_mul_i32 s4, s4, s5
	s_mul_hi_u32 s4, s5, s4
	s_add_i32 s5, s5, s4
	s_mul_hi_u32 s4, s24, s5
	s_mul_i32 s5, s4, s3
	s_sub_i32 s5, s24, s5
	s_add_i32 s6, s4, 1
	s_sub_i32 s8, s5, s3
	s_cmp_ge_u32 s5, s3
	s_cselect_b32 s4, s6, s4
	s_cselect_b32 s5, s8, s5
	s_add_i32 s6, s4, 1
	s_cmp_ge_u32 s5, s3
	s_cselect_b32 s4, s6, s4
	s_mul_i32 s6, s4, s20
	s_ashr_i32 s5, s6, 31
	s_lshr_b32 s5, s5, 30
	s_add_i32 s5, s6, s5
	s_ashr_i32 s5, s5, 2
	s_ashr_i32 s21, s20, 31
	s_lshl_b64 s[10:11], s[20:21], 2
	v_mov_b32_e32 v70, 0
	v_mov_b32_e32 v71, 0
	;; [unrolled: 1-line block ×4, first 2 shown]
	s_waitcnt vmcnt(1)
	v_mov_b32_e32 v6, v2
	v_ashrrev_i32_e32 v1, 2, v6
	v_add_u32_e32 v0, s5, v1
	buffer_store_dword v1, off, s[28:31], 0 offset:236 ; 4-byte Folded Spill
	v_ashrrev_i32_e32 v1, 31, v0
	v_lshlrev_b64 v[0:1], 2, v[0:1]
	v_mov_b32_e32 v2, s15
	v_add_co_u32_e32 v0, vcc, s14, v0
	v_addc_co_u32_e32 v1, vcc, v2, v1, vcc
	v_cndmask_b32_e64 v2, 0, 1, s[0:1]
	buffer_store_dword v2, off, s[28:31], 0 offset:160 ; 4-byte Folded Spill
	v_add_u32_e32 v2, s6, v6
	s_waitcnt vmcnt(2)
	v_ashrrev_i32_e32 v3, 31, v2
	v_lshlrev_b64 v[2:3], 1, v[2:3]
	s_lshr_b32 s0, s24, 2
	v_add_co_u32_e32 v2, vcc, s16, v2
	v_ashrrev_i32_e32 v7, 31, v6
	s_mul_i32 s8, s0, s20
	v_addc_co_u32_e32 v3, vcc, v4, v3, vcc
	global_load_dword v8, v[0:1], off
	v_lshlrev_b64 v[0:1], 2, v[6:7]
	global_load_dwordx2 v[126:127], v[2:3], off
	v_add_co_u32_e32 v2, vcc, s8, v6
	buffer_store_dword v6, off, s[28:31], 0 offset:228 ; 4-byte Folded Spill
	s_nop 0
	buffer_store_dword v7, off, s[28:31], 0 offset:232 ; 4-byte Folded Spill
	s_ashr_i32 s9, s8, 31
	v_mov_b32_e32 v3, s9
	s_lshl_b64 s[22:23], s[8:9], 2
	v_mov_b32_e32 v4, s23
	s_add_i32 s5, s3, s24
	s_lshl_b64 s[0:1], s[20:21], 5
	s_add_u32 s6, s10, s22
	s_addc_u32 s10, s11, s23
	s_waitcnt vmcnt(3)
	v_bfe_u32 v13, v8, 8, 8
	v_bfe_u32 v12, v8, 16, 8
	v_lshrrev_b32_e32 v15, 24, v8
	v_addc_co_u32_e32 v3, vcc, v3, v7, vcc
	v_add_co_u32_e32 v5, vcc, s22, v0
	v_addc_co_u32_e32 v4, vcc, v4, v1, vcc
	v_add_co_u32_e32 v5, vcc, 8, v5
	v_lshlrev_b64 v[2:3], 2, v[2:3]
	v_addc_co_u32_e32 v4, vcc, 0, v4, vcc
	buffer_store_dword v5, off, s[28:31], 0 offset:164 ; 4-byte Folded Spill
	buffer_store_dword v4, off, s[28:31], 0 offset:168 ; 4-byte Folded Spill
	v_mad_i64_i32 v[4:5], s[8:9], s20, 12, v[2:3]
	v_mad_i64_i32 v[6:7], s[8:9], s20, 20, v[2:3]
	v_add_co_u32_e32 v4, vcc, 8, v4
	s_lshl_b64 s[8:9], s[20:21], 3
	buffer_store_dword v4, off, s[28:31], 0 offset:172 ; 4-byte Folded Spill
	v_addc_co_u32_e32 v4, vcc, 0, v5, vcc
	buffer_store_dword v4, off, s[28:31], 0 offset:176 ; 4-byte Folded Spill
	v_mov_b32_e32 v4, s10
	s_add_u32 s10, s8, s22
	v_add_co_u32_e32 v5, vcc, s6, v0
	v_addc_co_u32_e32 v4, vcc, v4, v1, vcc
	s_addc_u32 s6, s9, s23
	buffer_store_dword v4, off, s[28:31], 0 offset:184 ; 4-byte Folded Spill
	v_mov_b32_e32 v4, s6
	v_add_co_u32_e32 v0, vcc, s10, v0
	s_lshl_b64 s[8:9], s[20:21], 4
	buffer_store_dword v0, off, s[28:31], 0 offset:188 ; 4-byte Folded Spill
	v_addc_co_u32_e32 v0, vcc, v4, v1, vcc
	buffer_store_dword v5, off, s[28:31], 0 offset:180 ; 4-byte Folded Spill
	v_mov_b32_e32 v5, s9
	buffer_store_dword v0, off, s[28:31], 0 offset:192 ; 4-byte Folded Spill
	v_add_co_u32_e32 v0, vcc, s8, v2
	v_addc_co_u32_e32 v1, vcc, v5, v3, vcc
	v_add_co_u32_e32 v0, vcc, 8, v0
	buffer_store_dword v0, off, s[28:31], 0 offset:196 ; 4-byte Folded Spill
	v_addc_co_u32_e32 v0, vcc, 0, v1, vcc
	buffer_store_dword v0, off, s[28:31], 0 offset:200 ; 4-byte Folded Spill
	v_and_b32_e32 v0, 0xff, v8
	buffer_store_dword v0, off, s[28:31], 0 offset:144 ; 4-byte Folded Spill
	s_nop 0
	buffer_store_dword v1, off, s[28:31], 0 offset:148 ; 4-byte Folded Spill
	buffer_store_dword v2, off, s[28:31], 0 offset:152 ; 4-byte Folded Spill
	;; [unrolled: 1-line block ×3, first 2 shown]
	v_add_co_u32_e32 v0, vcc, 8, v6
	buffer_store_dword v0, off, s[28:31], 0 offset:204 ; 4-byte Folded Spill
	v_addc_co_u32_e32 v0, vcc, 0, v7, vcc
	buffer_store_dword v0, off, s[28:31], 0 offset:208 ; 4-byte Folded Spill
	v_mov_b32_e32 v7, 0
	v_mov_b32_e32 v6, 0
	v_mad_i64_i32 v[0:1], s[8:9], s20, 24, v[2:3]
	v_add_co_u32_e32 v0, vcc, 8, v0
	buffer_store_dword v0, off, s[28:31], 0 offset:212 ; 4-byte Folded Spill
	v_addc_co_u32_e32 v0, vcc, 0, v1, vcc
	buffer_store_dword v0, off, s[28:31], 0 offset:216 ; 4-byte Folded Spill
	v_mad_i64_i32 v[0:1], s[8:9], s20, 28, v[2:3]
	v_add_co_u32_e32 v0, vcc, 8, v0
	buffer_store_dword v0, off, s[28:31], 0 offset:220 ; 4-byte Folded Spill
	v_addc_co_u32_e32 v0, vcc, 0, v1, vcc
	buffer_store_dword v0, off, s[28:31], 0 offset:224 ; 4-byte Folded Spill
	s_cmp_lg_u32 s24, s5
	buffer_store_dword v6, off, s[28:31], 0 ; 4-byte Folded Spill
	buffer_store_dword v7, off, s[28:31], 0 offset:4 ; 4-byte Folded Spill
	s_cbranch_scc1 .LBB34_16
.LBB34_15:
	buffer_load_dword v0, off, s[28:31], 0 offset:236 ; 4-byte Folded Reload
	s_add_i32 s4, s4, 1
	s_mul_i32 s6, s4, s20
	s_ashr_i32 s8, s6, 31
	s_lshr_b32 s8, s8, 30
	s_add_i32 s8, s6, s8
	s_ashr_i32 s8, s8, 2
	v_mov_b32_e32 v2, s15
	v_mov_b32_e32 v3, s17
	s_add_i32 s5, s5, s3
	s_waitcnt vmcnt(0)
	v_add_u32_e32 v0, s8, v0
	v_ashrrev_i32_e32 v1, 31, v0
	v_lshlrev_b64 v[0:1], 2, v[0:1]
	v_add_co_u32_e32 v0, vcc, s14, v0
	v_addc_co_u32_e32 v1, vcc, v2, v1, vcc
	global_load_dword v2, v[0:1], off
	s_nop 0
	buffer_load_dword v0, off, s[28:31], 0 offset:228 ; 4-byte Folded Reload
	buffer_load_dword v1, off, s[28:31], 0 offset:232 ; 4-byte Folded Reload
	s_waitcnt vmcnt(2)
	v_and_b32_e32 v8, 0xff, v2
	s_waitcnt vmcnt(1)
	v_add_u32_e32 v0, s6, v0
	s_waitcnt vmcnt(0)
	v_ashrrev_i32_e32 v1, 31, v0
	v_lshlrev_b64 v[0:1], 1, v[0:1]
	v_add_co_u32_e32 v0, vcc, s16, v0
	v_addc_co_u32_e32 v1, vcc, v3, v1, vcc
	global_load_dwordx2 v[126:127], v[0:1], off
	v_bfe_u32 v13, v2, 8, 8
	v_bfe_u32 v12, v2, 16, 8
	v_lshrrev_b32_e32 v15, 24, v2
	s_branch .LBB34_17
.LBB34_16:
	buffer_load_dword v8, off, s[28:31], 0 offset:144 ; 4-byte Folded Reload
	buffer_load_dword v9, off, s[28:31], 0 offset:148 ; 4-byte Folded Reload
	;; [unrolled: 1-line block ×4, first 2 shown]
.LBB34_17:
	buffer_load_dword v0, off, s[28:31], 0 offset:164 ; 4-byte Folded Reload
	buffer_load_dword v3, off, s[28:31], 0 offset:160 ; 4-byte Folded Reload
	v_mov_b32_e32 v1, s13
	s_waitcnt vmcnt(4)
	v_mov_b32_e32 v9, v13
	s_add_i32 s24, s24, 32
	s_waitcnt vmcnt(1)
	v_add_co_u32_e32 v4, vcc, s12, v0
	buffer_load_dword v0, off, s[28:31], 0 offset:168 ; 4-byte Folded Reload
	s_waitcnt vmcnt(0)
	v_addc_co_u32_e32 v5, vcc, v1, v0, vcc
	global_load_dwordx4 v[4:7], v[4:5], off offset:-8
	s_nop 0
	buffer_store_dword v8, off, s[28:31], 0 offset:96 ; 4-byte Folded Spill
	s_nop 0
	buffer_store_dword v9, off, s[28:31], 0 offset:100 ; 4-byte Folded Spill
	buffer_store_dword v10, off, s[28:31], 0 offset:104 ; 4-byte Folded Spill
	;; [unrolled: 1-line block ×3, first 2 shown]
	v_add_u32_e32 v0, v13, v3
	v_mov_b32_e32 v9, v15
	v_mov_b32_e32 v10, v12
	;; [unrolled: 1-line block ×3, first 2 shown]
	s_waitcnt vmcnt(4)
	buffer_store_dword v2, off, s[28:31], 0 offset:144 ; 4-byte Folded Spill
	s_nop 0
	buffer_store_dword v3, off, s[28:31], 0 offset:148 ; 4-byte Folded Spill
	buffer_store_dword v4, off, s[28:31], 0 offset:152 ; 4-byte Folded Spill
	;; [unrolled: 1-line block ×3, first 2 shown]
	v_add_u32_e32 v2, v8, v3
	buffer_load_dword v8, off, s[28:31], 0 offset:180 ; 4-byte Folded Reload
	v_add_u32_e32 v69, v15, v3
	v_add_u32_e32 v81, v12, v3
	v_mov_b32_e32 v3, s2
	v_sub_u32_sdwa v19, v5, v0 dst_sel:DWORD dst_unused:UNUSED_PAD src0_sel:BYTE_1 src1_sel:DWORD
	v_sub_u32_sdwa v21, v4, v2 dst_sel:DWORD dst_unused:UNUSED_PAD src0_sel:BYTE_1 src1_sel:DWORD
	v_cvt_f32_i32_e32 v19, v19
	v_cvt_f32_i32_e32 v21, v21
	v_sub_u32_sdwa v27, v5, v0 dst_sel:DWORD dst_unused:UNUSED_PAD src0_sel:BYTE_2 src1_sel:DWORD
	v_cvt_f16_f32_e32 v19, v19
	v_cvt_f16_f32_e32 v21, v21
	s_waitcnt vmcnt(0)
	v_add_co_u32_e32 v8, vcc, s12, v8
	buffer_store_dword v6, off, s[28:31], 0 offset:128 ; 4-byte Folded Spill
	s_nop 0
	buffer_store_dword v7, off, s[28:31], 0 offset:132 ; 4-byte Folded Spill
	buffer_store_dword v8, off, s[28:31], 0 offset:136 ; 4-byte Folded Spill
	;; [unrolled: 1-line block ×4, first 2 shown]
	s_nop 0
	buffer_store_dword v9, off, s[28:31], 0 offset:116 ; 4-byte Folded Spill
	buffer_store_dword v10, off, s[28:31], 0 offset:120 ; 4-byte Folded Spill
	;; [unrolled: 1-line block ×3, first 2 shown]
	buffer_load_dword v9, off, s[28:31], 0 offset:184 ; 4-byte Folded Reload
	ds_read_b128 v[44:47], v3
	ds_read_b128 v[48:51], v3 offset:256
	ds_read_b128 v[52:55], v3 offset:512
	ds_read_b128 v[56:59], v3 offset:768
	ds_read_b128 v[60:63], v3 offset:1024
	v_sub_u32_sdwa v11, v4, v2 dst_sel:DWORD dst_unused:UNUSED_PAD src0_sel:BYTE_0 src1_sel:DWORD
	v_sub_u32_sdwa v13, v7, v69 dst_sel:DWORD dst_unused:UNUSED_PAD src0_sel:BYTE_0 src1_sel:DWORD
	;; [unrolled: 1-line block ×3, first 2 shown]
	v_cvt_f32_i32_e32 v11, v11
	v_cvt_f32_i32_e32 v13, v13
	;; [unrolled: 1-line block ×3, first 2 shown]
	s_waitcnt lgkmcnt(3)
	v_cvt_f32_f16_e32 v10, v48
	v_cvt_f16_f32_e32 v11, v11
	v_cvt_f16_f32_e32 v13, v13
	;; [unrolled: 1-line block ×3, first 2 shown]
	s_waitcnt lgkmcnt(2)
	v_cvt_f32_f16_e32 v12, v52
	s_waitcnt lgkmcnt(1)
	v_cvt_f32_f16_e32 v14, v56
	;; [unrolled: 2-line block ×3, first 2 shown]
	v_sub_u32_sdwa v23, v7, v69 dst_sel:DWORD dst_unused:UNUSED_PAD src0_sel:BYTE_1 src1_sel:DWORD
	v_cvt_f32_f16_e32 v28, v11
	v_sub_u32_sdwa v25, v6, v81 dst_sel:DWORD dst_unused:UNUSED_PAD src0_sel:BYTE_1 src1_sel:DWORD
	v_cvt_f32_f16_e32 v31, v13
	v_cvt_f32_f16_e32 v30, v15
	v_cvt_f32_i32_e32 v23, v23
	v_cvt_f32_i32_e32 v25, v25
	v_cvt_f32_f16_sdwa v18, v44 dst_sel:DWORD dst_unused:UNUSED_PAD src0_sel:WORD_1
	v_cvt_f32_f16_sdwa v20, v48 dst_sel:DWORD dst_unused:UNUSED_PAD src0_sel:WORD_1
	v_cvt_f16_f32_e32 v23, v23
	v_cvt_f16_f32_e32 v25, v25
	v_cvt_f32_f16_sdwa v24, v56 dst_sel:DWORD dst_unused:UNUSED_PAD src0_sel:WORD_1
	v_cvt_f32_f16_sdwa v22, v52 dst_sel:DWORD dst_unused:UNUSED_PAD src0_sel:WORD_1
	v_cvt_f32_f16_e32 v41, v23
	v_cvt_f32_f16_e32 v40, v25
	v_cvt_f32_f16_sdwa v26, v60 dst_sel:DWORD dst_unused:UNUSED_PAD src0_sel:WORD_1
	v_cvt_f32_f16_e32 v48, v45
	s_waitcnt vmcnt(0)
	v_addc_co_u32_e32 v9, vcc, v1, v9, vcc
	global_load_dwordx4 v[64:67], v[8:9], off
	v_sub_u32_sdwa v9, v5, v0 dst_sel:DWORD dst_unused:UNUSED_PAD src0_sel:BYTE_0 src1_sel:DWORD
	v_cvt_f32_i32_e32 v9, v9
	v_cvt_f32_f16_e32 v8, v44
	v_sub_u32_sdwa v5, v5, v0 dst_sel:DWORD dst_unused:UNUSED_PAD src0_sel:BYTE_3 src1_sel:DWORD
	v_cvt_f32_f16_e32 v44, v53
	v_cvt_f16_f32_e32 v9, v9
	v_cvt_f32_f16_e32 v29, v9
	v_pk_fma_f32 v[32:33], v[28:29], v[8:9], 0 op_sel_hi:[1,0,0]
	v_pk_fma_f32 v[34:35], v[28:29], v[10:11], 0 op_sel_hi:[1,0,0]
	;; [unrolled: 1-line block ×10, first 2 shown]
	v_cvt_f32_f16_e32 v31, v19
	v_sub_u32_sdwa v19, v4, v2 dst_sel:DWORD dst_unused:UNUSED_PAD src0_sel:BYTE_2 src1_sel:DWORD
	v_cvt_f32_f16_e32 v30, v21
	v_cvt_f32_i32_e32 v19, v19
	v_cvt_f32_i32_e32 v21, v27
	v_sub_u32_sdwa v4, v4, v2 dst_sel:DWORD dst_unused:UNUSED_PAD src0_sel:BYTE_3 src1_sel:DWORD
	v_pk_fma_f32 v[74:75], v[30:31], v[22:23], v[36:37] op_sel_hi:[1,0,1]
	v_pk_fma_f32 v[42:43], v[30:31], v[18:19], v[32:33] op_sel_hi:[1,0,1]
	v_cvt_f16_f32_e32 v19, v19
	v_pk_fma_f32 v[72:73], v[30:31], v[20:21], v[34:35] op_sel_hi:[1,0,1]
	v_pk_fma_f32 v[34:35], v[40:41], v[24:25], v[14:15] op_sel_hi:[1,0,1]
	v_cvt_f16_f32_e32 v21, v21
	v_pk_fma_f32 v[84:85], v[40:41], v[18:19], v[8:9] op_sel_hi:[1,0,1]
	v_sub_u32_sdwa v8, v7, v69 dst_sel:DWORD dst_unused:UNUSED_PAD src0_sel:BYTE_2 src1_sel:DWORD
	v_cvt_f32_i32_e32 v8, v8
	v_sub_u32_sdwa v9, v6, v81 dst_sel:DWORD dst_unused:UNUSED_PAD src0_sel:BYTE_2 src1_sel:DWORD
	v_cvt_f32_i32_e32 v18, v9
	buffer_load_dword v9, off, s[28:31], 0 offset:192 ; 4-byte Folded Reload
	v_cvt_f16_f32_e32 v14, v8
	buffer_load_dword v8, off, s[28:31], 0 offset:188 ; 4-byte Folded Reload
	v_pk_fma_f32 v[36:37], v[40:41], v[20:21], v[10:11] op_sel_hi:[1,0,1]
	v_cvt_f16_f32_e32 v15, v18
	v_pk_fma_f32 v[76:77], v[30:31], v[24:25], v[38:39] op_sel_hi:[1,0,1]
	v_pk_fma_f32 v[82:83], v[30:31], v[26:27], v[28:29] op_sel_hi:[1,0,1]
	v_cvt_f32_f16_e32 v28, v49
	v_cvt_f32_f16_e32 v87, v21
	;; [unrolled: 1-line block ×5, first 2 shown]
	v_pk_fma_f32 v[32:33], v[40:41], v[22:23], v[12:13] op_sel_hi:[1,0,1]
	v_pk_fma_f32 v[12:13], v[86:87], v[48:49], v[42:43] op_sel_hi:[1,0,1]
	v_cvt_f32_f16_e32 v42, v57
	v_pk_fma_f32 v[14:15], v[86:87], v[28:29], v[72:73] op_sel_hi:[1,0,1]
	v_pk_fma_f32 v[28:29], v[38:39], v[28:29], v[36:37] op_sel_hi:[1,0,1]
	v_cvt_f32_i32_e32 v36, v5
	v_cvt_f32_i32_e32 v37, v4
	v_pk_fma_f32 v[4:5], v[38:39], v[44:45], v[32:33] op_sel_hi:[1,0,1]
	v_pk_fma_f32 v[32:33], v[38:39], v[42:43], v[34:35] op_sel_hi:[1,0,1]
	v_cvt_f16_f32_e32 v34, v36
	v_cvt_f16_f32_e32 v36, v37
	v_pk_fma_f32 v[30:31], v[40:41], v[26:27], v[16:17] op_sel_hi:[1,0,1]
	v_cvt_f32_f16_e32 v40, v61
	v_sub_u32_sdwa v7, v7, v69 dst_sel:DWORD dst_unused:UNUSED_PAD src0_sel:BYTE_3 src1_sel:DWORD
	v_cvt_f32_f16_e32 v35, v34
	v_cvt_f32_f16_e32 v34, v36
	v_cvt_f32_f16_sdwa v36, v45 dst_sel:DWORD dst_unused:UNUSED_PAD src0_sel:WORD_1
	v_sub_u32_sdwa v6, v6, v81 dst_sel:DWORD dst_unused:UNUSED_PAD src0_sel:BYTE_3 src1_sel:DWORD
	v_cvt_f32_i32_e32 v37, v7
	v_pk_fma_f32 v[26:27], v[38:39], v[48:49], v[84:85] op_sel_hi:[1,0,1]
	v_pk_fma_f32 v[30:31], v[38:39], v[40:41], v[30:31] op_sel_hi:[1,0,1]
	v_cvt_f32_i32_e32 v38, v6
	v_pk_fma_f32 v[6:7], v[34:35], v[36:37], v[12:13] op_sel_hi:[1,0,1]
	v_cvt_f32_f16_sdwa v12, v49 dst_sel:DWORD dst_unused:UNUSED_PAD src0_sel:WORD_1
	v_cvt_f16_f32_e32 v13, v37
	v_pk_fma_f32 v[16:17], v[86:87], v[44:45], v[74:75] op_sel_hi:[1,0,1]
	v_pk_fma_f32 v[20:21], v[86:87], v[40:41], v[82:83] op_sel_hi:[1,0,1]
	v_cvt_f16_f32_e32 v37, v38
	v_cvt_f32_f16_sdwa v38, v53 dst_sel:DWORD dst_unused:UNUSED_PAD src0_sel:WORD_1
	v_cvt_f32_f16_sdwa v40, v57 dst_sel:DWORD dst_unused:UNUSED_PAD src0_sel:WORD_1
	;; [unrolled: 1-line block ×3, first 2 shown]
	v_pk_fma_f32 v[18:19], v[86:87], v[42:43], v[76:77] op_sel_hi:[1,0,1]
	v_cvt_f32_f16_e32 v43, v13
	v_pk_fma_f32 v[14:15], v[34:35], v[12:13], v[14:15] op_sel_hi:[1,0,1]
	s_waitcnt vmcnt(2)
	v_sub_u32_sdwa v13, v65, v0 dst_sel:DWORD dst_unused:UNUSED_PAD src0_sel:BYTE_0 src1_sel:DWORD
	v_pk_fma_f32 v[16:17], v[34:35], v[38:39], v[16:17] op_sel_hi:[1,0,1]
	v_pk_fma_f32 v[18:19], v[34:35], v[40:41], v[18:19] op_sel_hi:[1,0,1]
	;; [unrolled: 1-line block ×3, first 2 shown]
	v_cvt_f32_i32_e32 v34, v13
	v_sub_u32_sdwa v13, v64, v2 dst_sel:DWORD dst_unused:UNUSED_PAD src0_sel:BYTE_0 src1_sel:DWORD
	v_cvt_f32_f16_e32 v42, v37
	v_cvt_f32_i32_e32 v35, v13
	ds_read_b128 v[22:25], v3 offset:16
	v_pk_fma_f32 v[12:13], v[42:43], v[12:13], v[28:29] op_sel_hi:[1,0,1]
	v_cvt_f16_f32_e32 v28, v34
	v_cvt_f16_f32_e32 v34, v35
	v_pk_fma_f32 v[26:27], v[42:43], v[36:37], v[26:27] op_sel_hi:[1,0,1]
	v_sub_u32_sdwa v35, v67, v69 dst_sel:DWORD dst_unused:UNUSED_PAD src0_sel:BYTE_0 src1_sel:DWORD
	v_sub_u32_sdwa v36, v66, v81 dst_sel:DWORD dst_unused:UNUSED_PAD src0_sel:BYTE_0 src1_sel:DWORD
	v_cvt_f32_f16_e32 v29, v28
	v_cvt_f32_f16_e32 v28, v34
	;; [unrolled: 1-line block ×3, first 2 shown]
	v_cvt_f32_i32_e32 v35, v35
	v_cvt_f32_i32_e32 v36, v36
	v_pk_fma_f32 v[32:33], v[42:43], v[40:41], v[32:33] op_sel_hi:[1,0,1]
	v_pk_fma_f32 v[4:5], v[42:43], v[38:39], v[4:5] op_sel_hi:[1,0,1]
	v_pk_fma_f32 v[52:53], v[28:29], v[34:35], v[14:15] op_sel_hi:[1,0,1]
	v_cvt_f16_f32_e32 v15, v35
	v_cvt_f16_f32_e32 v35, v36
	v_cvt_f32_f16_e32 v14, v54
	v_pk_fma_f32 v[30:31], v[42:43], v[44:45], v[30:31] op_sel_hi:[1,0,1]
	v_cvt_f32_f16_e32 v41, v15
	v_cvt_f32_f16_e32 v40, v35
	;; [unrolled: 1-line block ×5, first 2 shown]
	v_pk_fma_f32 v[118:119], v[40:41], v[14:15], v[4:5] op_sel_hi:[1,0,1]
	v_pk_fma_f32 v[114:115], v[28:29], v[42:43], v[6:7] op_sel_hi:[1,0,1]
	;; [unrolled: 1-line block ×3, first 2 shown]
	s_waitcnt vmcnt(0)
	v_add_co_u32_e32 v8, vcc, s12, v8
	v_addc_co_u32_e32 v9, vcc, v1, v9, vcc
	global_load_dwordx4 v[8:11], v[8:9], off
	v_pk_fma_f32 v[56:57], v[28:29], v[36:37], v[18:19] op_sel_hi:[1,0,1]
	v_pk_fma_f32 v[112:113], v[28:29], v[38:39], v[20:21] op_sel_hi:[1,0,1]
	;; [unrolled: 1-line block ×3, first 2 shown]
	ds_read_b128 v[26:29], v3 offset:272
	v_pk_fma_f32 v[116:117], v[40:41], v[34:35], v[12:13] op_sel_hi:[1,0,1]
	v_pk_fma_f32 v[122:123], v[40:41], v[38:39], v[30:31] op_sel_hi:[1,0,1]
	;; [unrolled: 1-line block ×3, first 2 shown]
	s_waitcnt lgkmcnt(1)
	v_cvt_f32_f16_sdwa v14, v22 dst_sel:DWORD dst_unused:UNUSED_PAD src0_sel:WORD_1
	s_waitcnt lgkmcnt(0)
	v_cvt_f32_f16_e32 v18, v26
	v_cvt_f32_f16_sdwa v20, v26 dst_sel:DWORD dst_unused:UNUSED_PAD src0_sel:WORD_1
	s_waitcnt vmcnt(0)
	v_sub_u32_sdwa v4, v9, v0 dst_sel:DWORD dst_unused:UNUSED_PAD src0_sel:BYTE_0 src1_sel:DWORD
	v_sub_u32_sdwa v5, v8, v2 dst_sel:DWORD dst_unused:UNUSED_PAD src0_sel:BYTE_0 src1_sel:DWORD
	v_cvt_f32_i32_e32 v4, v4
	v_cvt_f32_i32_e32 v5, v5
	v_sub_u32_sdwa v6, v9, v0 dst_sel:DWORD dst_unused:UNUSED_PAD src0_sel:BYTE_1 src1_sel:DWORD
	v_sub_u32_sdwa v7, v8, v2 dst_sel:DWORD dst_unused:UNUSED_PAD src0_sel:BYTE_1 src1_sel:DWORD
	v_cvt_f32_i32_e32 v6, v6
	v_cvt_f32_i32_e32 v7, v7
	v_cvt_f16_f32_e32 v4, v4
	v_cvt_f16_f32_e32 v12, v5
	v_cvt_f16_f32_e32 v6, v6
	v_cvt_f16_f32_e32 v13, v7
	v_cvt_f32_f16_e32 v5, v4
	v_cvt_f32_f16_e32 v4, v12
	;; [unrolled: 1-line block ×5, first 2 shown]
	v_pk_fma_f32 v[30:31], v[4:5], v[18:19], 0 op_sel_hi:[1,0,0]
	v_pk_fma_f32 v[42:43], v[6:7], v[20:21], v[30:31] op_sel_hi:[1,0,1]
	ds_read_b128 v[30:33], v3 offset:528
	v_pk_fma_f32 v[16:17], v[4:5], v[12:13], 0 op_sel_hi:[1,0,0]
	v_pk_fma_f32 v[16:17], v[6:7], v[14:15], v[16:17] op_sel_hi:[1,0,1]
	v_sub_u32_sdwa v15, v10, v81 dst_sel:DWORD dst_unused:UNUSED_PAD src0_sel:BYTE_1 src1_sel:DWORD
	v_cvt_f32_i32_e32 v15, v15
	s_waitcnt lgkmcnt(0)
	v_cvt_f32_f16_e32 v22, v30
	v_cvt_f32_f16_sdwa v26, v30 dst_sel:DWORD dst_unused:UNUSED_PAD src0_sel:WORD_1
	v_cvt_f16_f32_e32 v15, v15
	v_pk_fma_f32 v[34:35], v[4:5], v[22:23], 0 op_sel_hi:[1,0,0]
	v_pk_fma_f32 v[44:45], v[6:7], v[26:27], v[34:35] op_sel_hi:[1,0,1]
	ds_read_b128 v[34:37], v3 offset:784
	v_cvt_f32_f16_e32 v74, v15
	s_waitcnt lgkmcnt(0)
	v_cvt_f32_f16_e32 v30, v34
	v_cvt_f32_f16_sdwa v34, v34 dst_sel:DWORD dst_unused:UNUSED_PAD src0_sel:WORD_1
	v_pk_fma_f32 v[38:39], v[4:5], v[30:31], 0 op_sel_hi:[1,0,0]
	v_pk_fma_f32 v[60:61], v[6:7], v[34:35], v[38:39] op_sel_hi:[1,0,1]
	ds_read_b128 v[38:41], v3 offset:1040
	s_waitcnt lgkmcnt(0)
	v_cvt_f32_f16_e32 v72, v38
	v_cvt_f32_f16_sdwa v38, v38 dst_sel:DWORD dst_unused:UNUSED_PAD src0_sel:WORD_1
	v_pk_fma_f32 v[4:5], v[4:5], v[72:73], 0 op_sel_hi:[1,0,0]
	v_pk_fma_f32 v[4:5], v[6:7], v[38:39], v[4:5] op_sel_hi:[1,0,1]
	v_sub_u32_sdwa v6, v11, v69 dst_sel:DWORD dst_unused:UNUSED_PAD src0_sel:BYTE_0 src1_sel:DWORD
	v_sub_u32_sdwa v7, v10, v81 dst_sel:DWORD dst_unused:UNUSED_PAD src0_sel:BYTE_0 src1_sel:DWORD
	v_cvt_f32_i32_e32 v6, v6
	v_cvt_f32_i32_e32 v7, v7
	v_cvt_f16_f32_e32 v6, v6
	v_cvt_f16_f32_e32 v13, v7
	v_cvt_f32_f16_e32 v7, v6
	v_cvt_f32_f16_e32 v6, v13
	v_sub_u32_sdwa v13, v11, v69 dst_sel:DWORD dst_unused:UNUSED_PAD src0_sel:BYTE_1 src1_sel:DWORD
	v_cvt_f32_i32_e32 v13, v13
	v_cvt_f16_f32_e32 v13, v13
	v_cvt_f32_f16_e32 v75, v13
	v_pk_fma_f32 v[12:13], v[6:7], v[12:13], 0 op_sel_hi:[1,0,0]
	v_pk_fma_f32 v[12:13], v[74:75], v[14:15], v[12:13] op_sel_hi:[1,0,1]
	;; [unrolled: 1-line block ×5, first 2 shown]
	v_sub_u32_sdwa v22, v9, v0 dst_sel:DWORD dst_unused:UNUSED_PAD src0_sel:BYTE_2 src1_sel:DWORD
	v_sub_u32_sdwa v26, v8, v2 dst_sel:DWORD dst_unused:UNUSED_PAD src0_sel:BYTE_2 src1_sel:DWORD
	v_cvt_f32_i32_e32 v22, v22
	v_cvt_f32_i32_e32 v26, v26
	v_pk_fma_f32 v[14:15], v[74:75], v[20:21], v[14:15] op_sel_hi:[1,0,1]
	v_pk_fma_f32 v[20:21], v[6:7], v[30:31], 0 op_sel_hi:[1,0,0]
	v_cvt_f16_f32_e32 v22, v22
	v_cvt_f16_f32_e32 v26, v26
	v_pk_fma_f32 v[20:21], v[74:75], v[34:35], v[20:21] op_sel_hi:[1,0,1]
	v_pk_fma_f32 v[6:7], v[6:7], v[72:73], 0 op_sel_hi:[1,0,0]
	v_cvt_f32_f16_e32 v73, v22
	v_cvt_f32_f16_e32 v72, v26
	;; [unrolled: 1-line block ×3, first 2 shown]
	v_pk_fma_f32 v[6:7], v[74:75], v[38:39], v[6:7] op_sel_hi:[1,0,1]
	v_cvt_f32_f16_e32 v22, v23
	v_cvt_f32_f16_e32 v26, v27
	v_pk_fma_f32 v[74:75], v[72:73], v[34:35], v[60:61] op_sel_hi:[1,0,1]
	v_sub_u32_sdwa v60, v11, v69 dst_sel:DWORD dst_unused:UNUSED_PAD src0_sel:BYTE_2 src1_sel:DWORD
	v_sub_u32_sdwa v61, v10, v81 dst_sel:DWORD dst_unused:UNUSED_PAD src0_sel:BYTE_2 src1_sel:DWORD
	v_cvt_f32_f16_e32 v30, v31
	v_cvt_f32_f16_e32 v38, v39
	v_cvt_f32_i32_e32 v60, v60
	v_cvt_f32_i32_e32 v61, v61
	v_sub_u32_sdwa v9, v9, v0 dst_sel:DWORD dst_unused:UNUSED_PAD src0_sel:BYTE_3 src1_sel:DWORD
	v_sub_u32_sdwa v8, v8, v2 dst_sel:DWORD dst_unused:UNUSED_PAD src0_sel:BYTE_3 src1_sel:DWORD
	v_pk_fma_f32 v[16:17], v[72:73], v[22:23], v[16:17] op_sel_hi:[1,0,1]
	v_pk_fma_f32 v[42:43], v[72:73], v[26:27], v[42:43] op_sel_hi:[1,0,1]
	;; [unrolled: 1-line block ×4, first 2 shown]
	v_cvt_f16_f32_e32 v60, v60
	v_cvt_f16_f32_e32 v72, v61
	v_cvt_f32_i32_e32 v9, v9
	v_cvt_f32_i32_e32 v8, v8
	v_cvt_f32_f16_e32 v61, v60
	v_cvt_f32_f16_e32 v60, v72
	v_cvt_f16_f32_e32 v9, v9
	v_cvt_f16_f32_e32 v8, v8
	v_sub_u32_sdwa v11, v11, v69 dst_sel:DWORD dst_unused:UNUSED_PAD src0_sel:BYTE_3 src1_sel:DWORD
	v_pk_fma_f32 v[20:21], v[60:61], v[34:35], v[20:21] op_sel_hi:[1,0,1]
	v_sub_u32_sdwa v34, v10, v81 dst_sel:DWORD dst_unused:UNUSED_PAD src0_sel:BYTE_3 src1_sel:DWORD
	v_cvt_f32_f16_e32 v9, v9
	v_cvt_f32_f16_e32 v8, v8
	v_cvt_f32_f16_sdwa v10, v27 dst_sel:DWORD dst_unused:UNUSED_PAD src0_sel:WORD_1
	v_pk_fma_f32 v[12:13], v[60:61], v[22:23], v[12:13] op_sel_hi:[1,0,1]
	v_cvt_f32_f16_sdwa v22, v31 dst_sel:DWORD dst_unused:UNUSED_PAD src0_sel:WORD_1
	v_pk_fma_f32 v[14:15], v[60:61], v[26:27], v[14:15] op_sel_hi:[1,0,1]
	v_pk_fma_f32 v[26:27], v[8:9], v[10:11], v[42:43] op_sel_hi:[1,0,1]
	buffer_store_dword v26, off, s[28:31], 0 offset:72 ; 4-byte Folded Spill
	s_nop 0
	buffer_store_dword v27, off, s[28:31], 0 offset:76 ; 4-byte Folded Spill
	v_pk_fma_f32 v[26:27], v[8:9], v[22:23], v[44:45] op_sel_hi:[1,0,1]
	buffer_store_dword v26, off, s[28:31], 0 offset:80 ; 4-byte Folded Spill
	s_nop 0
	buffer_store_dword v27, off, s[28:31], 0 offset:84 ; 4-byte Folded Spill
	v_cvt_f32_f16_sdwa v26, v35 dst_sel:DWORD dst_unused:UNUSED_PAD src0_sel:WORD_1
	v_pk_fma_f32 v[18:19], v[60:61], v[30:31], v[18:19] op_sel_hi:[1,0,1]
	v_pk_fma_f32 v[6:7], v[60:61], v[38:39], v[6:7] op_sel_hi:[1,0,1]
	;; [unrolled: 1-line block ×3, first 2 shown]
	buffer_store_dword v30, off, s[28:31], 0 offset:88 ; 4-byte Folded Spill
	s_nop 0
	buffer_store_dword v31, off, s[28:31], 0 offset:92 ; 4-byte Folded Spill
	v_cvt_f32_f16_sdwa v30, v39 dst_sel:DWORD dst_unused:UNUSED_PAD src0_sel:WORD_1
	v_pk_fma_f32 v[106:107], v[8:9], v[30:31], v[4:5] op_sel_hi:[1,0,1]
	v_cvt_f32_f16_sdwa v4, v23 dst_sel:DWORD dst_unused:UNUSED_PAD src0_sel:WORD_1
	v_pk_fma_f32 v[108:109], v[8:9], v[4:5], v[16:17] op_sel_hi:[1,0,1]
	v_cvt_f32_i32_e32 v5, v11
	v_cvt_f32_i32_e32 v8, v34
	v_cvt_f16_f32_e32 v5, v5
	v_cvt_f16_f32_e32 v8, v8
	v_cvt_f32_f16_e32 v9, v5
	v_cvt_f32_f16_e32 v8, v8
	v_pk_fma_f32 v[96:97], v[8:9], v[4:5], v[12:13] op_sel_hi:[1,0,1]
	buffer_load_dword v4, off, s[28:31], 0 offset:196 ; 4-byte Folded Reload
	buffer_load_dword v5, off, s[28:31], 0 offset:200 ; 4-byte Folded Reload
	v_pk_fma_f32 v[92:93], v[8:9], v[26:27], v[20:21] op_sel_hi:[1,0,1]
	v_pk_fma_f32 v[60:61], v[8:9], v[30:31], v[6:7] op_sel_hi:[1,0,1]
	;; [unrolled: 1-line block ×4, first 2 shown]
	s_waitcnt vmcnt(1)
	v_add_co_u32_e32 v4, vcc, s12, v4
	s_waitcnt vmcnt(0)
	v_addc_co_u32_e32 v5, vcc, v1, v5, vcc
	global_load_dwordx4 v[42:45], v[4:5], off offset:-8
	s_waitcnt vmcnt(0)
	v_sub_u32_sdwa v4, v43, v0 dst_sel:DWORD dst_unused:UNUSED_PAD src0_sel:BYTE_0 src1_sel:DWORD
	v_sub_u32_sdwa v5, v42, v2 dst_sel:DWORD dst_unused:UNUSED_PAD src0_sel:BYTE_0 src1_sel:DWORD
	v_cvt_f32_i32_e32 v4, v4
	v_cvt_f32_i32_e32 v5, v5
	v_cvt_f16_f32_e32 v4, v4
	v_cvt_f16_f32_e32 v5, v5
	v_cvt_f32_f16_e32 v27, v4
	v_cvt_f32_f16_e32 v26, v5
	v_sub_u32_sdwa v4, v43, v0 dst_sel:DWORD dst_unused:UNUSED_PAD src0_sel:BYTE_1 src1_sel:DWORD
	v_sub_u32_sdwa v5, v42, v2 dst_sel:DWORD dst_unused:UNUSED_PAD src0_sel:BYTE_1 src1_sel:DWORD
	v_cvt_f32_i32_e32 v4, v4
	v_cvt_f32_i32_e32 v5, v5
	v_cvt_f16_f32_e32 v4, v4
	v_cvt_f16_f32_e32 v5, v5
	v_cvt_f32_f16_e32 v31, v4
	v_cvt_f32_f16_e32 v30, v5
	ds_read_b128 v[4:7], v3 offset:32
	s_waitcnt lgkmcnt(0)
	v_cvt_f32_f16_e32 v34, v4
	v_cvt_f32_f16_sdwa v4, v4 dst_sel:DWORD dst_unused:UNUSED_PAD src0_sel:WORD_1
	v_pk_fma_f32 v[8:9], v[26:27], v[34:35], 0 op_sel_hi:[1,0,0]
	v_pk_fma_f32 v[38:39], v[30:31], v[4:5], v[8:9] op_sel_hi:[1,0,1]
	ds_read_b128 v[8:11], v3 offset:288
	s_waitcnt lgkmcnt(0)
	v_cvt_f32_f16_e32 v72, v8
	v_cvt_f32_f16_sdwa v8, v8 dst_sel:DWORD dst_unused:UNUSED_PAD src0_sel:WORD_1
	v_pk_fma_f32 v[12:13], v[26:27], v[72:73], 0 op_sel_hi:[1,0,0]
	v_pk_fma_f32 v[74:75], v[30:31], v[8:9], v[12:13] op_sel_hi:[1,0,1]
	ds_read_b128 v[12:15], v3 offset:544
	v_sub_u32_sdwa v73, v44, v81 dst_sel:DWORD dst_unused:UNUSED_PAD src0_sel:BYTE_1 src1_sel:DWORD
	v_cvt_f32_i32_e32 v73, v73
	s_waitcnt lgkmcnt(0)
	v_cvt_f32_f16_e32 v76, v12
	v_cvt_f32_f16_sdwa v12, v12 dst_sel:DWORD dst_unused:UNUSED_PAD src0_sel:WORD_1
	v_cvt_f16_f32_e32 v73, v73
	v_pk_fma_f32 v[16:17], v[26:27], v[76:77], 0 op_sel_hi:[1,0,0]
	v_pk_fma_f32 v[82:83], v[30:31], v[12:13], v[16:17] op_sel_hi:[1,0,1]
	ds_read_b128 v[16:19], v3 offset:800
	v_cvt_f32_f16_e32 v90, v73
	s_waitcnt lgkmcnt(0)
	v_cvt_f32_f16_e32 v84, v16
	v_cvt_f32_f16_sdwa v16, v16 dst_sel:DWORD dst_unused:UNUSED_PAD src0_sel:WORD_1
	v_pk_fma_f32 v[20:21], v[26:27], v[84:85], 0 op_sel_hi:[1,0,0]
	v_pk_fma_f32 v[86:87], v[30:31], v[16:17], v[20:21] op_sel_hi:[1,0,1]
	ds_read_b128 v[20:23], v3 offset:1056
	s_waitcnt lgkmcnt(0)
	v_cvt_f32_f16_e32 v88, v20
	v_cvt_f32_f16_sdwa v20, v20 dst_sel:DWORD dst_unused:UNUSED_PAD src0_sel:WORD_1
	v_pk_fma_f32 v[26:27], v[26:27], v[88:89], 0 op_sel_hi:[1,0,0]
	v_pk_fma_f32 v[26:27], v[30:31], v[20:21], v[26:27] op_sel_hi:[1,0,1]
	v_sub_u32_sdwa v30, v45, v69 dst_sel:DWORD dst_unused:UNUSED_PAD src0_sel:BYTE_0 src1_sel:DWORD
	v_sub_u32_sdwa v31, v44, v81 dst_sel:DWORD dst_unused:UNUSED_PAD src0_sel:BYTE_0 src1_sel:DWORD
	v_cvt_f32_i32_e32 v30, v30
	v_cvt_f32_i32_e32 v31, v31
	v_cvt_f16_f32_e32 v30, v30
	v_cvt_f16_f32_e32 v35, v31
	v_cvt_f32_f16_e32 v31, v30
	v_cvt_f32_f16_e32 v30, v35
	v_sub_u32_sdwa v35, v45, v69 dst_sel:DWORD dst_unused:UNUSED_PAD src0_sel:BYTE_1 src1_sel:DWORD
	v_cvt_f32_i32_e32 v35, v35
	v_pk_fma_f32 v[72:73], v[30:31], v[72:73], 0 op_sel_hi:[1,0,0]
	v_cvt_f16_f32_e32 v35, v35
	v_cvt_f32_f16_e32 v91, v35
	v_pk_fma_f32 v[34:35], v[30:31], v[34:35], 0 op_sel_hi:[1,0,0]
	v_pk_fma_f32 v[34:35], v[90:91], v[4:5], v[34:35] op_sel_hi:[1,0,1]
	;; [unrolled: 1-line block ×3, first 2 shown]
	v_sub_u32_sdwa v4, v43, v0 dst_sel:DWORD dst_unused:UNUSED_PAD src0_sel:BYTE_2 src1_sel:DWORD
	v_sub_u32_sdwa v8, v42, v2 dst_sel:DWORD dst_unused:UNUSED_PAD src0_sel:BYTE_2 src1_sel:DWORD
	v_cvt_f32_i32_e32 v4, v4
	v_cvt_f32_i32_e32 v8, v8
	v_pk_fma_f32 v[72:73], v[30:31], v[76:77], 0 op_sel_hi:[1,0,0]
	v_pk_fma_f32 v[100:101], v[90:91], v[12:13], v[72:73] op_sel_hi:[1,0,1]
	v_cvt_f16_f32_e32 v4, v4
	v_cvt_f16_f32_e32 v8, v8
	v_pk_fma_f32 v[72:73], v[30:31], v[84:85], 0 op_sel_hi:[1,0,0]
	v_pk_fma_f32 v[30:31], v[30:31], v[88:89], 0 op_sel_hi:[1,0,0]
	;; [unrolled: 1-line block ×4, first 2 shown]
	v_cvt_f32_f16_e32 v31, v4
	v_cvt_f32_f16_e32 v30, v8
	;; [unrolled: 1-line block ×6, first 2 shown]
	v_pk_fma_f32 v[76:77], v[30:31], v[12:13], v[86:87] op_sel_hi:[1,0,1]
	v_pk_fma_f32 v[86:87], v[30:31], v[16:17], v[26:27] op_sel_hi:[1,0,1]
	v_sub_u32_sdwa v26, v45, v69 dst_sel:DWORD dst_unused:UNUSED_PAD src0_sel:BYTE_2 src1_sel:DWORD
	v_sub_u32_sdwa v27, v44, v81 dst_sel:DWORD dst_unused:UNUSED_PAD src0_sel:BYTE_2 src1_sel:DWORD
	v_cvt_f32_i32_e32 v26, v26
	v_cvt_f32_i32_e32 v27, v27
	v_cvt_f32_f16_e32 v8, v13
	v_pk_fma_f32 v[90:91], v[30:31], v[20:21], v[38:39] op_sel_hi:[1,0,1]
	v_cvt_f16_f32_e32 v26, v26
	v_cvt_f16_f32_e32 v27, v27
	v_pk_fma_f32 v[72:73], v[30:31], v[4:5], v[74:75] op_sel_hi:[1,0,1]
	v_pk_fma_f32 v[74:75], v[30:31], v[8:9], v[82:83] op_sel_hi:[1,0,1]
	v_cvt_f32_f16_e32 v39, v26
	v_cvt_f32_f16_e32 v38, v27
	v_pk_fma_f32 v[30:31], v[38:39], v[4:5], v[124:125] op_sel_hi:[1,0,1]
	v_sub_u32_sdwa v4, v65, v0 dst_sel:DWORD dst_unused:UNUSED_PAD src0_sel:BYTE_1 src1_sel:DWORD
	v_cvt_f32_i32_e32 v4, v4
	v_pk_fma_f32 v[82:83], v[38:39], v[8:9], v[100:101] op_sel_hi:[1,0,1]
	v_sub_u32_sdwa v8, v64, v2 dst_sel:DWORD dst_unused:UNUSED_PAD src0_sel:BYTE_1 src1_sel:DWORD
	v_cvt_f32_i32_e32 v8, v8
	v_cvt_f16_f32_e32 v4, v4
	v_pk_fma_f32 v[26:27], v[38:39], v[20:21], v[34:35] op_sel_hi:[1,0,1]
	v_pk_fma_f32 v[84:85], v[38:39], v[12:13], v[84:85] op_sel_hi:[1,0,1]
	v_cvt_f32_f16_sdwa v12, v50 dst_sel:DWORD dst_unused:UNUSED_PAD src0_sel:WORD_1
	v_cvt_f32_f16_e32 v35, v4
	v_cvt_f32_f16_sdwa v4, v46 dst_sel:DWORD dst_unused:UNUSED_PAD src0_sel:WORD_1
	v_sub_u32_sdwa v46, v66, v81 dst_sel:DWORD dst_unused:UNUSED_PAD src0_sel:BYTE_1 src1_sel:DWORD
	v_sub_u32_sdwa v50, v67, v69 dst_sel:DWORD dst_unused:UNUSED_PAD src0_sel:BYTE_1 src1_sel:DWORD
	v_cvt_f16_f32_e32 v8, v8
	v_cvt_f32_i32_e32 v46, v46
	v_cvt_f32_i32_e32 v50, v50
	v_pk_fma_f32 v[88:89], v[38:39], v[16:17], v[88:89] op_sel_hi:[1,0,1]
	v_cvt_f32_f16_e32 v34, v8
	v_cvt_f32_f16_sdwa v8, v62 dst_sel:DWORD dst_unused:UNUSED_PAD src0_sel:WORD_1
	v_cvt_f32_f16_sdwa v16, v54 dst_sel:DWORD dst_unused:UNUSED_PAD src0_sel:WORD_1
	;; [unrolled: 1-line block ×3, first 2 shown]
	v_cvt_f16_f32_e32 v46, v46
	v_cvt_f16_f32_e32 v50, v50
	v_pk_fma_f32 v[38:39], v[34:35], v[4:5], v[114:115] op_sel_hi:[1,0,1]
	v_pk_fma_f32 v[100:101], v[34:35], v[8:9], v[112:113] op_sel_hi:[1,0,1]
	;; [unrolled: 1-line block ×5, first 2 shown]
	v_cvt_f32_f16_e32 v56, v46
	v_cvt_f32_f16_e32 v57, v50
	v_sub_u32_sdwa v46, v67, v69 dst_sel:DWORD dst_unused:UNUSED_PAD src0_sel:BYTE_2 src1_sel:DWORD
	v_sub_u32_sdwa v50, v66, v81 dst_sel:DWORD dst_unused:UNUSED_PAD src0_sel:BYTE_2 src1_sel:DWORD
	v_cvt_f32_i32_e32 v46, v46
	v_pk_fma_f32 v[112:113], v[56:57], v[8:9], v[122:123] op_sel_hi:[1,0,1]
	v_pk_fma_f32 v[48:49], v[56:57], v[4:5], v[48:49] op_sel_hi:[1,0,1]
	v_sub_u32_sdwa v4, v65, v0 dst_sel:DWORD dst_unused:UNUSED_PAD src0_sel:BYTE_2 src1_sel:DWORD
	v_sub_u32_sdwa v8, v64, v2 dst_sel:DWORD dst_unused:UNUSED_PAD src0_sel:BYTE_2 src1_sel:DWORD
	v_cvt_f32_i32_e32 v4, v4
	v_cvt_f32_i32_e32 v8, v8
	;; [unrolled: 1-line block ×3, first 2 shown]
	v_pk_fma_f32 v[114:115], v[56:57], v[12:13], v[116:117] op_sel_hi:[1,0,1]
	v_cvt_f16_f32_e32 v4, v4
	v_cvt_f16_f32_e32 v8, v8
	v_pk_fma_f32 v[116:117], v[56:57], v[16:17], v[118:119] op_sel_hi:[1,0,1]
	v_pk_fma_f32 v[56:57], v[56:57], v[20:21], v[120:121] op_sel_hi:[1,0,1]
	v_cvt_f32_f16_e32 v119, v4
	v_cvt_f32_f16_e32 v118, v8
	v_cvt_f32_f16_e32 v4, v47
	v_cvt_f32_f16_e32 v8, v63
	v_cvt_f32_f16_e32 v12, v51
	v_cvt_f32_f16_e32 v16, v55
	v_cvt_f32_f16_e32 v20, v59
	v_cvt_f16_f32_e32 v46, v46
	v_cvt_f16_f32_e32 v50, v50
	v_pk_fma_f32 v[38:39], v[118:119], v[4:5], v[38:39] op_sel_hi:[1,0,1]
	v_pk_fma_f32 v[100:101], v[118:119], v[8:9], v[100:101] op_sel_hi:[1,0,1]
	v_pk_fma_f32 v[52:53], v[118:119], v[12:13], v[52:53] op_sel_hi:[1,0,1]
	v_pk_fma_f32 v[110:111], v[118:119], v[16:17], v[110:111] op_sel_hi:[1,0,1]
	v_pk_fma_f32 v[34:35], v[118:119], v[20:21], v[34:35] op_sel_hi:[1,0,1]
	v_cvt_f32_f16_e32 v119, v46
	v_cvt_f32_f16_e32 v118, v50
	v_sub_u32_sdwa v46, v64, v2 dst_sel:DWORD dst_unused:UNUSED_PAD src0_sel:BYTE_3 src1_sel:DWORD
	v_sub_u32_sdwa v50, v65, v0 dst_sel:DWORD dst_unused:UNUSED_PAD src0_sel:BYTE_3 src1_sel:DWORD
	v_cvt_f32_i32_e32 v46, v46
	v_pk_fma_f32 v[48:49], v[118:119], v[4:5], v[48:49] op_sel_hi:[1,0,1]
	v_cvt_f32_f16_sdwa v4, v47 dst_sel:DWORD dst_unused:UNUSED_PAD src0_sel:WORD_1
	v_cvt_f32_i32_e32 v47, v50
	v_cvt_f16_f32_e32 v46, v46
	v_pk_fma_f32 v[120:121], v[118:119], v[8:9], v[112:113] op_sel_hi:[1,0,1]
	v_cvt_f32_f16_sdwa v8, v51 dst_sel:DWORD dst_unused:UNUSED_PAD src0_sel:WORD_1
	v_cvt_f16_f32_e32 v47, v47
	v_cvt_f32_f16_e32 v46, v46
	v_pk_fma_f32 v[122:123], v[118:119], v[12:13], v[114:115] op_sel_hi:[1,0,1]
	v_pk_fma_f32 v[116:117], v[118:119], v[16:17], v[116:117] op_sel_hi:[1,0,1]
	v_cvt_f32_f16_e32 v47, v47
	v_cvt_f32_f16_sdwa v12, v55 dst_sel:DWORD dst_unused:UNUSED_PAD src0_sel:WORD_1
	v_cvt_f32_f16_sdwa v16, v59 dst_sel:DWORD dst_unused:UNUSED_PAD src0_sel:WORD_1
	v_sub_u32_sdwa v58, v66, v81 dst_sel:DWORD dst_unused:UNUSED_PAD src0_sel:BYTE_3 src1_sel:DWORD
	v_pk_fma_f32 v[54:55], v[46:47], v[4:5], v[38:39] op_sel_hi:[1,0,1]
	v_pk_fma_f32 v[38:39], v[46:47], v[8:9], v[52:53] op_sel_hi:[1,0,1]
	buffer_store_dword v38, off, s[28:31], 0 offset:64 ; 4-byte Folded Spill
	s_nop 0
	buffer_store_dword v39, off, s[28:31], 0 offset:68 ; 4-byte Folded Spill
	v_pk_fma_f32 v[38:39], v[46:47], v[12:13], v[110:111] op_sel_hi:[1,0,1]
	v_pk_fma_f32 v[34:35], v[46:47], v[16:17], v[34:35] op_sel_hi:[1,0,1]
	v_sub_u32_sdwa v62, v67, v69 dst_sel:DWORD dst_unused:UNUSED_PAD src0_sel:BYTE_3 src1_sel:DWORD
	buffer_store_dword v38, off, s[28:31], 0 offset:56 ; 4-byte Folded Spill
	s_nop 0
	buffer_store_dword v39, off, s[28:31], 0 offset:60 ; 4-byte Folded Spill
	buffer_store_dword v34, off, s[28:31], 0 offset:48 ; 4-byte Folded Spill
	s_nop 0
	buffer_store_dword v35, off, s[28:31], 0 offset:52 ; 4-byte Folded Spill
	v_cvt_f32_i32_e32 v34, v62
	v_cvt_f32_i32_e32 v35, v58
	v_pk_fma_f32 v[118:119], v[118:119], v[20:21], v[56:57] op_sel_hi:[1,0,1]
	v_cvt_f32_f16_sdwa v20, v63 dst_sel:DWORD dst_unused:UNUSED_PAD src0_sel:WORD_1
	v_cvt_f16_f32_e32 v34, v34
	v_cvt_f16_f32_e32 v38, v35
	v_pk_fma_f32 v[56:57], v[46:47], v[20:21], v[100:101] op_sel_hi:[1,0,1]
	v_cvt_f32_f16_e32 v35, v34
	v_cvt_f32_f16_e32 v34, v38
	v_pk_fma_f32 v[38:39], v[34:35], v[20:21], v[120:121] op_sel_hi:[1,0,1]
	buffer_store_dword v38, off, s[28:31], 0 offset:40 ; 4-byte Folded Spill
	s_nop 0
	buffer_store_dword v39, off, s[28:31], 0 offset:44 ; 4-byte Folded Spill
	v_pk_fma_f32 v[38:39], v[34:35], v[4:5], v[48:49] op_sel_hi:[1,0,1]
	buffer_store_dword v38, off, s[28:31], 0 offset:32 ; 4-byte Folded Spill
	s_nop 0
	buffer_store_dword v39, off, s[28:31], 0 offset:36 ; 4-byte Folded Spill
	;; [unrolled: 4-line block ×3, first 2 shown]
	v_pk_fma_f32 v[38:39], v[34:35], v[12:13], v[116:117] op_sel_hi:[1,0,1]
	v_pk_fma_f32 v[34:35], v[34:35], v[16:17], v[118:119] op_sel_hi:[1,0,1]
	buffer_store_dword v38, off, s[28:31], 0 offset:16 ; 4-byte Folded Spill
	s_nop 0
	buffer_store_dword v39, off, s[28:31], 0 offset:20 ; 4-byte Folded Spill
	buffer_store_dword v34, off, s[28:31], 0 offset:8 ; 4-byte Folded Spill
	s_nop 0
	buffer_store_dword v35, off, s[28:31], 0 offset:12 ; 4-byte Folded Spill
	buffer_load_dword v4, off, s[28:31], 0 offset:172 ; 4-byte Folded Reload
	v_cvt_f32_f16_e32 v12, v28
	v_cvt_f32_f16_e32 v16, v32
	;; [unrolled: 1-line block ×3, first 2 shown]
	s_waitcnt vmcnt(0)
	v_add_co_u32_e32 v34, vcc, s12, v4
	buffer_load_dword v4, off, s[28:31], 0 offset:176 ; 4-byte Folded Reload
	s_waitcnt vmcnt(0)
	v_addc_co_u32_e32 v35, vcc, v1, v4, vcc
	global_load_dwordx4 v[46:49], v[34:35], off offset:-8
	buffer_load_dword v50, off, s[28:31], 0 offset:72 ; 4-byte Folded Reload
	buffer_load_dword v51, off, s[28:31], 0 offset:76 ; 4-byte Folded Reload
	s_waitcnt vmcnt(2)
	v_sub_u32_sdwa v4, v47, v0 dst_sel:DWORD dst_unused:UNUSED_PAD src0_sel:BYTE_0 src1_sel:DWORD
	v_sub_u32_sdwa v8, v46, v2 dst_sel:DWORD dst_unused:UNUSED_PAD src0_sel:BYTE_0 src1_sel:DWORD
	v_cvt_f32_i32_e32 v4, v4
	v_cvt_f32_i32_e32 v8, v8
	v_cvt_f16_f32_e32 v4, v4
	v_cvt_f16_f32_e32 v8, v8
	v_cvt_f32_f16_e32 v35, v4
	v_cvt_f32_f16_e32 v34, v8
	;; [unrolled: 1-line block ×4, first 2 shown]
	s_waitcnt vmcnt(0)
	v_pk_fma_f32 v[62:63], v[34:35], v[12:13], v[50:51] op_sel_hi:[1,0,1]
	buffer_load_dword v50, off, s[28:31], 0 offset:80 ; 4-byte Folded Reload
	buffer_load_dword v51, off, s[28:31], 0 offset:84 ; 4-byte Folded Reload
	v_pk_fma_f32 v[38:39], v[34:35], v[4:5], v[108:109] op_sel_hi:[1,0,1]
	v_pk_fma_f32 v[58:59], v[34:35], v[8:9], v[106:107] op_sel_hi:[1,0,1]
	s_waitcnt vmcnt(0)
	v_pk_fma_f32 v[64:65], v[34:35], v[16:17], v[50:51] op_sel_hi:[1,0,1]
	buffer_load_dword v50, off, s[28:31], 0 offset:88 ; 4-byte Folded Reload
	buffer_load_dword v51, off, s[28:31], 0 offset:92 ; 4-byte Folded Reload
	s_waitcnt vmcnt(0)
	v_pk_fma_f32 v[34:35], v[34:35], v[20:21], v[50:51] op_sel_hi:[1,0,1]
	v_sub_u32_sdwa v50, v48, v81 dst_sel:DWORD dst_unused:UNUSED_PAD src0_sel:BYTE_0 src1_sel:DWORD
	v_sub_u32_sdwa v51, v49, v69 dst_sel:DWORD dst_unused:UNUSED_PAD src0_sel:BYTE_0 src1_sel:DWORD
	v_cvt_f32_i32_e32 v50, v50
	v_cvt_f32_i32_e32 v51, v51
	v_cvt_f16_f32_e32 v50, v50
	v_cvt_f16_f32_e32 v51, v51
	v_cvt_f32_f16_e32 v66, v50
	v_cvt_f32_f16_e32 v67, v51
	v_pk_fma_f32 v[96:97], v[66:67], v[4:5], v[96:97] op_sel_hi:[1,0,1]
	v_sub_u32_sdwa v4, v47, v0 dst_sel:DWORD dst_unused:UNUSED_PAD src0_sel:BYTE_1 src1_sel:DWORD
	v_cvt_f32_i32_e32 v4, v4
	v_pk_fma_f32 v[60:61], v[66:67], v[8:9], v[60:61] op_sel_hi:[1,0,1]
	v_sub_u32_sdwa v8, v46, v2 dst_sel:DWORD dst_unused:UNUSED_PAD src0_sel:BYTE_1 src1_sel:DWORD
	v_cvt_f32_i32_e32 v8, v8
	v_cvt_f16_f32_e32 v4, v4
	v_pk_fma_f32 v[98:99], v[66:67], v[12:13], v[98:99] op_sel_hi:[1,0,1]
	v_pk_fma_f32 v[94:95], v[66:67], v[16:17], v[94:95] op_sel_hi:[1,0,1]
	;; [unrolled: 1-line block ×3, first 2 shown]
	v_cvt_f32_f16_e32 v93, v4
	v_cvt_f32_f16_sdwa v4, v24 dst_sel:DWORD dst_unused:UNUSED_PAD src0_sel:WORD_1
	v_cvt_f32_f16_sdwa v12, v28 dst_sel:DWORD dst_unused:UNUSED_PAD src0_sel:WORD_1
	v_sub_u32_sdwa v24, v49, v69 dst_sel:DWORD dst_unused:UNUSED_PAD src0_sel:BYTE_1 src1_sel:DWORD
	v_sub_u32_sdwa v28, v48, v81 dst_sel:DWORD dst_unused:UNUSED_PAD src0_sel:BYTE_1 src1_sel:DWORD
	v_cvt_f16_f32_e32 v8, v8
	v_cvt_f32_i32_e32 v24, v24
	v_cvt_f32_i32_e32 v28, v28
	v_cvt_f32_f16_sdwa v16, v32 dst_sel:DWORD dst_unused:UNUSED_PAD src0_sel:WORD_1
	v_cvt_f32_f16_e32 v92, v8
	v_cvt_f32_f16_sdwa v8, v40 dst_sel:DWORD dst_unused:UNUSED_PAD src0_sel:WORD_1
	v_cvt_f32_f16_sdwa v20, v36 dst_sel:DWORD dst_unused:UNUSED_PAD src0_sel:WORD_1
	v_cvt_f16_f32_e32 v24, v24
	v_cvt_f16_f32_e32 v28, v28
	v_pk_fma_f32 v[38:39], v[92:93], v[4:5], v[38:39] op_sel_hi:[1,0,1]
	v_pk_fma_f32 v[58:59], v[92:93], v[8:9], v[58:59] op_sel_hi:[1,0,1]
	;; [unrolled: 1-line block ×5, first 2 shown]
	v_cvt_f32_f16_e32 v93, v24
	v_cvt_f32_f16_e32 v92, v28
	v_sub_u32_sdwa v24, v49, v69 dst_sel:DWORD dst_unused:UNUSED_PAD src0_sel:BYTE_2 src1_sel:DWORD
	v_sub_u32_sdwa v28, v48, v81 dst_sel:DWORD dst_unused:UNUSED_PAD src0_sel:BYTE_2 src1_sel:DWORD
	v_cvt_f32_i32_e32 v24, v24
	v_pk_fma_f32 v[60:61], v[92:93], v[8:9], v[60:61] op_sel_hi:[1,0,1]
	v_pk_fma_f32 v[96:97], v[92:93], v[4:5], v[96:97] op_sel_hi:[1,0,1]
	v_sub_u32_sdwa v4, v47, v0 dst_sel:DWORD dst_unused:UNUSED_PAD src0_sel:BYTE_2 src1_sel:DWORD
	v_sub_u32_sdwa v8, v46, v2 dst_sel:DWORD dst_unused:UNUSED_PAD src0_sel:BYTE_2 src1_sel:DWORD
	v_cvt_f32_i32_e32 v4, v4
	v_cvt_f32_i32_e32 v8, v8
	;; [unrolled: 1-line block ×3, first 2 shown]
	v_pk_fma_f32 v[98:99], v[92:93], v[12:13], v[98:99] op_sel_hi:[1,0,1]
	v_cvt_f16_f32_e32 v4, v4
	v_cvt_f16_f32_e32 v8, v8
	v_pk_fma_f32 v[94:95], v[92:93], v[16:17], v[94:95] op_sel_hi:[1,0,1]
	v_pk_fma_f32 v[66:67], v[92:93], v[20:21], v[66:67] op_sel_hi:[1,0,1]
	v_cvt_f32_f16_e32 v93, v4
	v_cvt_f32_f16_e32 v92, v8
	;; [unrolled: 1-line block ×3, first 2 shown]
	v_cvt_f16_f32_e32 v24, v24
	v_cvt_f16_f32_e32 v28, v28
	v_cvt_f32_f16_e32 v4, v25
	v_pk_fma_f32 v[100:101], v[92:93], v[16:17], v[64:65] op_sel_hi:[1,0,1]
	v_cvt_f32_f16_e32 v65, v24
	v_cvt_f32_f16_e32 v64, v28
	v_sub_u32_sdwa v24, v47, v0 dst_sel:DWORD dst_unused:UNUSED_PAD src0_sel:BYTE_3 src1_sel:DWORD
	v_sub_u32_sdwa v28, v46, v2 dst_sel:DWORD dst_unused:UNUSED_PAD src0_sel:BYTE_3 src1_sel:DWORD
	v_pk_fma_f32 v[38:39], v[92:93], v[4:5], v[38:39] op_sel_hi:[1,0,1]
	v_pk_fma_f32 v[96:97], v[64:65], v[4:5], v[96:97] op_sel_hi:[1,0,1]
	v_cvt_f32_f16_sdwa v4, v25 dst_sel:DWORD dst_unused:UNUSED_PAD src0_sel:WORD_1
	v_cvt_f32_i32_e32 v24, v24
	v_cvt_f32_i32_e32 v25, v28
	v_cvt_f32_f16_e32 v8, v41
	v_cvt_f32_f16_e32 v12, v29
	;; [unrolled: 1-line block ×3, first 2 shown]
	v_cvt_f16_f32_e32 v24, v24
	v_cvt_f16_f32_e32 v28, v25
	v_pk_fma_f32 v[58:59], v[92:93], v[8:9], v[58:59] op_sel_hi:[1,0,1]
	v_pk_fma_f32 v[62:63], v[92:93], v[12:13], v[62:63] op_sel_hi:[1,0,1]
	;; [unrolled: 1-line block ×7, first 2 shown]
	v_cvt_f32_f16_sdwa v8, v29 dst_sel:DWORD dst_unused:UNUSED_PAD src0_sel:WORD_1
	v_cvt_f32_f16_sdwa v12, v33 dst_sel:DWORD dst_unused:UNUSED_PAD src0_sel:WORD_1
	v_cvt_f32_f16_sdwa v16, v37 dst_sel:DWORD dst_unused:UNUSED_PAD src0_sel:WORD_1
	v_cvt_f32_f16_sdwa v20, v41 dst_sel:DWORD dst_unused:UNUSED_PAD src0_sel:WORD_1
	v_cvt_f32_f16_e32 v25, v24
	v_cvt_f32_f16_e32 v24, v28
	v_sub_u32_sdwa v32, v49, v69 dst_sel:DWORD dst_unused:UNUSED_PAD src0_sel:BYTE_3 src1_sel:DWORD
	v_sub_u32_sdwa v36, v48, v81 dst_sel:DWORD dst_unused:UNUSED_PAD src0_sel:BYTE_3 src1_sel:DWORD
	;; [unrolled: 1-line block ×3, first 2 shown]
	v_pk_fma_f32 v[64:65], v[24:25], v[4:5], v[38:39] op_sel_hi:[1,0,1]
	v_pk_fma_f32 v[66:67], v[24:25], v[20:21], v[58:59] op_sel_hi:[1,0,1]
	;; [unrolled: 1-line block ×5, first 2 shown]
	v_cvt_f32_i32_e32 v24, v32
	v_cvt_f32_i32_e32 v25, v36
	v_cvt_f32_f16_e32 v34, v22
	v_cvt_f32_f16_sdwa v22, v22 dst_sel:DWORD dst_unused:UNUSED_PAD src0_sel:WORD_1
	v_cvt_f16_f32_e32 v24, v24
	v_cvt_f16_f32_e32 v28, v25
	v_cvt_f32_f16_e32 v25, v24
	v_cvt_f32_f16_e32 v24, v28
	v_sub_u32_sdwa v28, v44, v81 dst_sel:DWORD dst_unused:UNUSED_PAD src0_sel:BYTE_3 src1_sel:DWORD
	v_pk_fma_f32 v[36:37], v[24:25], v[4:5], v[96:97] op_sel_hi:[1,0,1]
	v_pk_fma_f32 v[38:39], v[24:25], v[8:9], v[98:99] op_sel_hi:[1,0,1]
	v_sub_u32_sdwa v4, v42, v2 dst_sel:DWORD dst_unused:UNUSED_PAD src0_sel:BYTE_3 src1_sel:DWORD
	v_sub_u32_sdwa v8, v43, v0 dst_sel:DWORD dst_unused:UNUSED_PAD src0_sel:BYTE_3 src1_sel:DWORD
	v_cvt_f32_i32_e32 v8, v8
	v_cvt_f32_i32_e32 v4, v4
	v_pk_fma_f32 v[40:41], v[24:25], v[20:21], v[92:93] op_sel_hi:[1,0,1]
	v_pk_fma_f32 v[46:47], v[24:25], v[12:13], v[94:95] op_sel_hi:[1,0,1]
	v_cvt_f16_f32_e32 v8, v8
	v_cvt_f16_f32_e32 v4, v4
	v_pk_fma_f32 v[48:49], v[24:25], v[16:17], v[106:107] op_sel_hi:[1,0,1]
	v_cvt_f32_f16_sdwa v12, v9 dst_sel:DWORD dst_unused:UNUSED_PAD src0_sel:WORD_1
	v_cvt_f32_f16_e32 v25, v8
	v_cvt_f32_f16_e32 v24, v4
	v_cvt_f32_f16_sdwa v8, v5 dst_sel:DWORD dst_unused:UNUSED_PAD src0_sel:WORD_1
	v_cvt_f32_f16_sdwa v4, v21 dst_sel:DWORD dst_unused:UNUSED_PAD src0_sel:WORD_1
	;; [unrolled: 1-line block ×4, first 2 shown]
	v_pk_fma_f32 v[42:43], v[24:25], v[8:9], v[90:91] op_sel_hi:[1,0,1]
	v_pk_fma_f32 v[44:45], v[24:25], v[4:5], v[86:87] op_sel_hi:[1,0,1]
	v_cvt_f32_i32_e32 v5, v28
	v_cvt_f32_i32_e32 v9, v29
	v_pk_fma_f32 v[72:73], v[24:25], v[12:13], v[72:73] op_sel_hi:[1,0,1]
	v_pk_fma_f32 v[74:75], v[24:25], v[16:17], v[74:75] op_sel_hi:[1,0,1]
	v_cvt_f16_f32_e32 v5, v5
	v_cvt_f16_f32_e32 v9, v9
	v_pk_fma_f32 v[76:77], v[24:25], v[20:21], v[76:77] op_sel_hi:[1,0,1]
	v_cvt_f32_f16_e32 v24, v5
	v_cvt_f32_f16_e32 v25, v9
	v_pk_fma_f32 v[4:5], v[24:25], v[4:5], v[88:89] op_sel_hi:[1,0,1]
	v_pk_fma_f32 v[8:9], v[24:25], v[8:9], v[26:27] op_sel_hi:[1,0,1]
	;; [unrolled: 1-line block ×5, first 2 shown]
	buffer_load_dword v24, off, s[28:31], 0 offset:204 ; 4-byte Folded Reload
	buffer_load_dword v25, off, s[28:31], 0 offset:208 ; 4-byte Folded Reload
	v_cvt_f32_f16_e32 v82, v14
	v_cvt_f32_f16_e32 v84, v18
	v_cvt_f32_f16_sdwa v14, v14 dst_sel:DWORD dst_unused:UNUSED_PAD src0_sel:WORD_1
	v_cvt_f32_f16_sdwa v18, v18 dst_sel:DWORD dst_unused:UNUSED_PAD src0_sel:WORD_1
	s_waitcnt vmcnt(1)
	v_add_co_u32_e32 v24, vcc, s12, v24
	s_waitcnt vmcnt(0)
	v_addc_co_u32_e32 v25, vcc, v1, v25, vcc
	global_load_dwordx4 v[24:27], v[24:25], off offset:-8
	s_waitcnt vmcnt(0)
	v_sub_u32_sdwa v28, v25, v0 dst_sel:DWORD dst_unused:UNUSED_PAD src0_sel:BYTE_0 src1_sel:DWORD
	v_sub_u32_sdwa v29, v24, v2 dst_sel:DWORD dst_unused:UNUSED_PAD src0_sel:BYTE_0 src1_sel:DWORD
	v_cvt_f32_i32_e32 v28, v28
	v_cvt_f32_i32_e32 v29, v29
	v_cvt_f16_f32_e32 v28, v28
	v_cvt_f16_f32_e32 v30, v29
	v_cvt_f32_f16_e32 v29, v28
	v_cvt_f32_f16_e32 v28, v30
	;; [unrolled: 1-line block ×3, first 2 shown]
	v_cvt_f32_f16_sdwa v6, v6 dst_sel:DWORD dst_unused:UNUSED_PAD src0_sel:WORD_1
	v_pk_fma_f32 v[74:75], v[28:29], v[82:83], v[74:75] op_sel_hi:[1,0,1]
	v_pk_fma_f32 v[32:33], v[28:29], v[30:31], v[42:43] op_sel_hi:[1,0,1]
	;; [unrolled: 1-line block ×3, first 2 shown]
	v_sub_u32_sdwa v31, v27, v69 dst_sel:DWORD dst_unused:UNUSED_PAD src0_sel:BYTE_0 src1_sel:DWORD
	v_sub_u32_sdwa v35, v26, v81 dst_sel:DWORD dst_unused:UNUSED_PAD src0_sel:BYTE_0 src1_sel:DWORD
	v_cvt_f32_i32_e32 v31, v31
	v_cvt_f32_i32_e32 v35, v35
	v_cvt_f32_f16_e32 v44, v10
	v_cvt_f32_f16_sdwa v10, v10 dst_sel:DWORD dst_unused:UNUSED_PAD src0_sel:WORD_1
	v_cvt_f16_f32_e32 v31, v31
	v_cvt_f16_f32_e32 v35, v35
	v_pk_fma_f32 v[72:73], v[28:29], v[44:45], v[72:73] op_sel_hi:[1,0,1]
	v_pk_fma_f32 v[28:29], v[28:29], v[84:85], v[76:77] op_sel_hi:[1,0,1]
	v_cvt_f32_f16_e32 v77, v31
	v_cvt_f32_f16_e32 v76, v35
	v_pk_fma_f32 v[8:9], v[76:77], v[30:31], v[8:9] op_sel_hi:[1,0,1]
	v_sub_u32_sdwa v30, v25, v0 dst_sel:DWORD dst_unused:UNUSED_PAD src0_sel:BYTE_1 src1_sel:DWORD
	v_sub_u32_sdwa v31, v24, v2 dst_sel:DWORD dst_unused:UNUSED_PAD src0_sel:BYTE_1 src1_sel:DWORD
	v_cvt_f32_i32_e32 v30, v30
	v_cvt_f32_i32_e32 v31, v31
	v_pk_fma_f32 v[4:5], v[76:77], v[34:35], v[4:5] op_sel_hi:[1,0,1]
	v_pk_fma_f32 v[12:13], v[76:77], v[44:45], v[12:13] op_sel_hi:[1,0,1]
	v_cvt_f16_f32_e32 v30, v30
	v_cvt_f16_f32_e32 v34, v31
	v_pk_fma_f32 v[16:17], v[76:77], v[82:83], v[16:17] op_sel_hi:[1,0,1]
	v_pk_fma_f32 v[20:21], v[76:77], v[84:85], v[20:21] op_sel_hi:[1,0,1]
	v_cvt_f32_f16_e32 v31, v30
	v_cvt_f32_f16_e32 v30, v34
	v_pk_fma_f32 v[32:33], v[30:31], v[6:7], v[32:33] op_sel_hi:[1,0,1]
	v_pk_fma_f32 v[34:35], v[30:31], v[22:23], v[42:43] op_sel_hi:[1,0,1]
	;; [unrolled: 1-line block ×5, first 2 shown]
	v_sub_u32_sdwa v30, v27, v69 dst_sel:DWORD dst_unused:UNUSED_PAD src0_sel:BYTE_1 src1_sel:DWORD
	v_sub_u32_sdwa v31, v26, v81 dst_sel:DWORD dst_unused:UNUSED_PAD src0_sel:BYTE_1 src1_sel:DWORD
	v_cvt_f32_i32_e32 v30, v30
	v_cvt_f32_i32_e32 v31, v31
	v_cvt_f16_f32_e32 v30, v30
	v_cvt_f16_f32_e32 v50, v31
	v_cvt_f32_f16_e32 v31, v30
	v_cvt_f32_f16_e32 v30, v50
	v_pk_fma_f32 v[8:9], v[30:31], v[6:7], v[8:9] op_sel_hi:[1,0,1]
	v_pk_fma_f32 v[12:13], v[30:31], v[10:11], v[12:13] op_sel_hi:[1,0,1]
	v_sub_u32_sdwa v6, v25, v0 dst_sel:DWORD dst_unused:UNUSED_PAD src0_sel:BYTE_2 src1_sel:DWORD
	v_sub_u32_sdwa v10, v24, v2 dst_sel:DWORD dst_unused:UNUSED_PAD src0_sel:BYTE_2 src1_sel:DWORD
	v_cvt_f32_i32_e32 v6, v6
	v_cvt_f32_i32_e32 v10, v10
	v_pk_fma_f32 v[4:5], v[30:31], v[22:23], v[4:5] op_sel_hi:[1,0,1]
	v_pk_fma_f32 v[16:17], v[30:31], v[14:15], v[16:17] op_sel_hi:[1,0,1]
	v_cvt_f16_f32_e32 v6, v6
	v_cvt_f16_f32_e32 v10, v10
	v_pk_fma_f32 v[20:21], v[30:31], v[18:19], v[20:21] op_sel_hi:[1,0,1]
	v_cvt_f32_f16_e32 v14, v11
	v_cvt_f32_f16_e32 v31, v6
	;; [unrolled: 1-line block ×7, first 2 shown]
	v_pk_fma_f32 v[32:33], v[30:31], v[6:7], v[32:33] op_sel_hi:[1,0,1]
	v_pk_fma_f32 v[34:35], v[30:31], v[10:11], v[34:35] op_sel_hi:[1,0,1]
	;; [unrolled: 1-line block ×5, first 2 shown]
	v_sub_u32_sdwa v30, v27, v69 dst_sel:DWORD dst_unused:UNUSED_PAD src0_sel:BYTE_2 src1_sel:DWORD
	v_sub_u32_sdwa v31, v26, v81 dst_sel:DWORD dst_unused:UNUSED_PAD src0_sel:BYTE_2 src1_sel:DWORD
	v_cvt_f32_i32_e32 v30, v30
	v_cvt_f32_i32_e32 v31, v31
	v_sub_u32_sdwa v25, v25, v0 dst_sel:DWORD dst_unused:UNUSED_PAD src0_sel:BYTE_3 src1_sel:DWORD
	v_sub_u32_sdwa v24, v24, v2 dst_sel:DWORD dst_unused:UNUSED_PAD src0_sel:BYTE_3 src1_sel:DWORD
	v_cvt_f16_f32_e32 v30, v30
	v_cvt_f16_f32_e32 v50, v31
	v_sub_u32_sdwa v27, v27, v69 dst_sel:DWORD dst_unused:UNUSED_PAD src0_sel:BYTE_3 src1_sel:DWORD
	v_sub_u32_sdwa v26, v26, v81 dst_sel:DWORD dst_unused:UNUSED_PAD src0_sel:BYTE_3 src1_sel:DWORD
	v_cvt_f32_f16_e32 v31, v30
	v_cvt_f32_f16_e32 v30, v50
	v_pk_fma_f32 v[4:5], v[30:31], v[10:11], v[4:5] op_sel_hi:[1,0,1]
	v_pk_fma_f32 v[8:9], v[30:31], v[6:7], v[8:9] op_sel_hi:[1,0,1]
	v_cvt_f32_f16_sdwa v6, v7 dst_sel:DWORD dst_unused:UNUSED_PAD src0_sel:WORD_1
	v_cvt_f32_f16_sdwa v10, v11 dst_sel:DWORD dst_unused:UNUSED_PAD src0_sel:WORD_1
	v_cvt_f32_i32_e32 v7, v25
	v_cvt_f32_i32_e32 v11, v24
	v_pk_fma_f32 v[12:13], v[30:31], v[14:15], v[12:13] op_sel_hi:[1,0,1]
	v_pk_fma_f32 v[16:17], v[30:31], v[18:19], v[16:17] op_sel_hi:[1,0,1]
	v_cvt_f16_f32_e32 v7, v7
	v_cvt_f16_f32_e32 v11, v11
	v_pk_fma_f32 v[20:21], v[30:31], v[22:23], v[20:21] op_sel_hi:[1,0,1]
	v_cvt_f32_f16_sdwa v14, v15 dst_sel:DWORD dst_unused:UNUSED_PAD src0_sel:WORD_1
	v_cvt_f32_f16_e32 v25, v7
	v_cvt_f32_f16_e32 v24, v11
	v_cvt_f32_f16_sdwa v18, v19 dst_sel:DWORD dst_unused:UNUSED_PAD src0_sel:WORD_1
	v_cvt_f32_f16_sdwa v22, v23 dst_sel:DWORD dst_unused:UNUSED_PAD src0_sel:WORD_1
	v_pk_fma_f32 v[84:85], v[24:25], v[6:7], v[32:33] op_sel_hi:[1,0,1]
	v_pk_fma_f32 v[82:83], v[24:25], v[10:11], v[42:43] op_sel_hi:[1,0,1]
	v_cvt_f32_i32_e32 v7, v27
	v_cvt_f32_i32_e32 v11, v26
	v_pk_fma_f32 v[86:87], v[24:25], v[22:23], v[34:35] op_sel_hi:[1,0,1]
	v_pk_fma_f32 v[34:35], v[24:25], v[14:15], v[44:45] op_sel_hi:[1,0,1]
	v_cvt_f16_f32_e32 v7, v7
	v_cvt_f16_f32_e32 v11, v11
	v_pk_fma_f32 v[110:111], v[24:25], v[18:19], v[28:29] op_sel_hi:[1,0,1]
	v_cvt_f32_f16_e32 v25, v7
	v_cvt_f32_f16_e32 v24, v11
	v_pk_fma_f32 v[76:77], v[24:25], v[22:23], v[4:5] op_sel_hi:[1,0,1]
	buffer_load_dword v4, off, s[28:31], 0 offset:220 ; 4-byte Folded Reload
	buffer_load_dword v5, off, s[28:31], 0 offset:224 ; 4-byte Folded Reload
	v_pk_fma_f32 v[74:75], v[24:25], v[6:7], v[8:9] op_sel_hi:[1,0,1]
	v_pk_fma_f32 v[72:73], v[24:25], v[10:11], v[12:13] op_sel_hi:[1,0,1]
	;; [unrolled: 1-line block ×4, first 2 shown]
	s_waitcnt vmcnt(1)
	v_add_co_u32_e32 v4, vcc, s12, v4
	s_waitcnt vmcnt(0)
	v_addc_co_u32_e32 v5, vcc, v1, v5, vcc
	global_load_dwordx4 v[4:7], v[4:5], off offset:-8
	s_waitcnt vmcnt(0)
	v_sub_u32_sdwa v123, v4, v2 dst_sel:DWORD dst_unused:UNUSED_PAD src0_sel:BYTE_0 src1_sel:DWORD
	v_sub_u32_sdwa v120, v4, v2 dst_sel:DWORD dst_unused:UNUSED_PAD src0_sel:BYTE_1 src1_sel:DWORD
	v_sub_u32_sdwa v116, v4, v2 dst_sel:DWORD dst_unused:UNUSED_PAD src0_sel:BYTE_2 src1_sel:DWORD
	v_sub_u32_sdwa v107, v4, v2 dst_sel:DWORD dst_unused:UNUSED_PAD src0_sel:BYTE_3 src1_sel:DWORD
	buffer_load_dword v4, off, s[28:31], 0 offset:212 ; 4-byte Folded Reload
	v_sub_u32_sdwa v30, v5, v0 dst_sel:DWORD dst_unused:UNUSED_PAD src0_sel:BYTE_0 src1_sel:DWORD
	v_sub_u32_sdwa v119, v5, v0 dst_sel:DWORD dst_unused:UNUSED_PAD src0_sel:BYTE_1 src1_sel:DWORD
	v_sub_u32_sdwa v109, v5, v0 dst_sel:DWORD dst_unused:UNUSED_PAD src0_sel:BYTE_2 src1_sel:DWORD
	v_sub_u32_sdwa v101, v5, v0 dst_sel:DWORD dst_unused:UNUSED_PAD src0_sel:BYTE_3 src1_sel:DWORD
	buffer_load_dword v5, off, s[28:31], 0 offset:216 ; 4-byte Folded Reload
	v_sub_u32_sdwa v121, v6, v81 dst_sel:DWORD dst_unused:UNUSED_PAD src0_sel:BYTE_0 src1_sel:DWORD
	v_sub_u32_sdwa v122, v7, v69 dst_sel:DWORD dst_unused:UNUSED_PAD src0_sel:BYTE_0 src1_sel:DWORD
	v_sub_u32_sdwa v117, v7, v69 dst_sel:DWORD dst_unused:UNUSED_PAD src0_sel:BYTE_1 src1_sel:DWORD
	v_sub_u32_sdwa v118, v6, v81 dst_sel:DWORD dst_unused:UNUSED_PAD src0_sel:BYTE_1 src1_sel:DWORD
	v_sub_u32_sdwa v124, v7, v69 dst_sel:DWORD dst_unused:UNUSED_PAD src0_sel:BYTE_2 src1_sel:DWORD
	v_sub_u32_sdwa v125, v6, v81 dst_sel:DWORD dst_unused:UNUSED_PAD src0_sel:BYTE_2 src1_sel:DWORD
	v_sub_u32_sdwa v32, v7, v69 dst_sel:DWORD dst_unused:UNUSED_PAD src0_sel:BYTE_3 src1_sel:DWORD
	v_sub_u32_sdwa v31, v6, v81 dst_sel:DWORD dst_unused:UNUSED_PAD src0_sel:BYTE_3 src1_sel:DWORD
	s_waitcnt vmcnt(1)
	v_add_co_u32_e32 v4, vcc, s12, v4
	s_add_u32 s12, s12, s0
	s_addc_u32 s13, s13, s1
	s_add_i32 s2, s2, 64
	s_waitcnt vmcnt(0)
	v_addc_co_u32_e32 v5, vcc, v1, v5, vcc
	global_load_dwordx4 v[4:7], v[4:5], off offset:-8
	s_cmp_ge_i32 s24, s25
	s_waitcnt vmcnt(0)
	v_sub_u32_sdwa v9, v5, v0 dst_sel:DWORD dst_unused:UNUSED_PAD src0_sel:BYTE_0 src1_sel:DWORD
	v_sub_u32_sdwa v10, v5, v0 dst_sel:DWORD dst_unused:UNUSED_PAD src0_sel:BYTE_1 src1_sel:DWORD
	v_sub_u32_sdwa v27, v5, v0 dst_sel:DWORD dst_unused:UNUSED_PAD src0_sel:BYTE_2 src1_sel:DWORD
	v_sub_u32_sdwa v25, v5, v0 dst_sel:DWORD dst_unused:UNUSED_PAD src0_sel:BYTE_3 src1_sel:DWORD
	v_cvt_f32_i32_e32 v5, v9
	v_sub_u32_sdwa v24, v4, v2 dst_sel:DWORD dst_unused:UNUSED_PAD src0_sel:BYTE_2 src1_sel:DWORD
	v_sub_u32_sdwa v26, v4, v2 dst_sel:DWORD dst_unused:UNUSED_PAD src0_sel:BYTE_3 src1_sel:DWORD
	v_sub_u32_sdwa v8, v4, v2 dst_sel:DWORD dst_unused:UNUSED_PAD src0_sel:BYTE_0 src1_sel:DWORD
	v_cvt_f16_f32_e32 v5, v5
	v_sub_u32_sdwa v4, v4, v2 dst_sel:DWORD dst_unused:UNUSED_PAD src0_sel:BYTE_1 src1_sel:DWORD
	v_sub_u32_sdwa v2, v6, v81 dst_sel:DWORD dst_unused:UNUSED_PAD src0_sel:BYTE_2 src1_sel:DWORD
	v_sub_u32_sdwa v28, v6, v81 dst_sel:DWORD dst_unused:UNUSED_PAD src0_sel:BYTE_3 src1_sel:DWORD
	v_sub_u32_sdwa v0, v6, v81 dst_sel:DWORD dst_unused:UNUSED_PAD src0_sel:BYTE_0 src1_sel:DWORD
	v_sub_u32_sdwa v1, v6, v81 dst_sel:DWORD dst_unused:UNUSED_PAD src0_sel:BYTE_1 src1_sel:DWORD
	v_cvt_f32_i32_e32 v6, v8
	v_cvt_f32_f16_e32 v89, v5
	v_cvt_f32_i32_e32 v5, v10
	v_cvt_f32_i32_e32 v4, v4
	v_cvt_f16_f32_e32 v6, v6
	v_sub_u32_sdwa v33, v7, v69 dst_sel:DWORD dst_unused:UNUSED_PAD src0_sel:BYTE_0 src1_sel:DWORD
	v_cvt_f16_f32_e32 v5, v5
	v_cvt_f16_f32_e32 v4, v4
	v_sub_u32_sdwa v29, v7, v69 dst_sel:DWORD dst_unused:UNUSED_PAD src0_sel:BYTE_1 src1_sel:DWORD
	v_sub_u32_sdwa v81, v7, v69 dst_sel:DWORD dst_unused:UNUSED_PAD src0_sel:BYTE_2 src1_sel:DWORD
	v_sub_u32_sdwa v69, v7, v69 dst_sel:DWORD dst_unused:UNUSED_PAD src0_sel:BYTE_3 src1_sel:DWORD
	v_cvt_f32_f16_e32 v88, v6
	v_cvt_f32_f16_e32 v91, v5
	;; [unrolled: 1-line block ×3, first 2 shown]
	ds_read_b128 v[4:7], v3 offset:48
	v_cvt_f32_i32_e32 v0, v0
	v_cvt_f32_i32_e32 v1, v1
	;; [unrolled: 1-line block ×3, first 2 shown]
	s_waitcnt lgkmcnt(0)
	v_cvt_f32_f16_e32 v104, v4
	v_cvt_f32_f16_sdwa v106, v4 dst_sel:DWORD dst_unused:UNUSED_PAD src0_sel:WORD_1
	v_cvt_f16_f32_e32 v0, v0
	v_cvt_f16_f32_e32 v2, v2
	v_pk_fma_f32 v[8:9], v[88:89], v[104:105], 0 op_sel_hi:[1,0,0]
	v_pk_fma_f32 v[92:93], v[90:91], v[106:107], v[8:9] op_sel_hi:[1,0,1]
	ds_read_b128 v[8:11], v3 offset:304
	v_cvt_f32_f16_e32 v2, v2
	s_waitcnt lgkmcnt(0)
	v_cvt_f32_f16_e32 v100, v8
	v_cvt_f32_f16_sdwa v4, v8 dst_sel:DWORD dst_unused:UNUSED_PAD src0_sel:WORD_1
	v_pk_fma_f32 v[12:13], v[88:89], v[100:101], 0 op_sel_hi:[1,0,0]
	v_pk_fma_f32 v[94:95], v[90:91], v[4:5], v[12:13] op_sel_hi:[1,0,1]
	ds_read_b128 v[12:15], v3 offset:560
	s_waitcnt lgkmcnt(0)
	v_cvt_f32_f16_e32 v102, v12
	v_cvt_f32_f16_sdwa v8, v12 dst_sel:DWORD dst_unused:UNUSED_PAD src0_sel:WORD_1
	v_pk_fma_f32 v[16:17], v[88:89], v[102:103], 0 op_sel_hi:[1,0,0]
	v_pk_fma_f32 v[96:97], v[90:91], v[8:9], v[16:17] op_sel_hi:[1,0,1]
	ds_read_b128 v[16:19], v3 offset:816
	;; [unrolled: 6-line block ×3, first 2 shown]
	v_cvt_f32_i32_e32 v3, v33
	s_waitcnt lgkmcnt(0)
	v_cvt_f32_f16_e32 v16, v20
	v_cvt_f32_f16_sdwa v20, v20 dst_sel:DWORD dst_unused:UNUSED_PAD src0_sel:WORD_1
	v_cvt_f16_f32_e32 v3, v3
	v_pk_fma_f32 v[88:89], v[88:89], v[16:17], 0 op_sel_hi:[1,0,0]
	v_pk_fma_f32 v[88:89], v[90:91], v[20:21], v[88:89] op_sel_hi:[1,0,1]
	v_cvt_f32_f16_e32 v90, v0
	v_cvt_f32_i32_e32 v0, v29
	v_cvt_f32_f16_e32 v91, v3
	v_cvt_f16_f32_e32 v3, v1
	v_cvt_f16_f32_e32 v0, v0
	v_pk_fma_f32 v[114:115], v[90:91], v[104:105], 0 op_sel_hi:[1,0,0]
	v_pk_fma_f32 v[112:113], v[90:91], v[100:101], 0 op_sel_hi:[1,0,0]
	;; [unrolled: 1-line block ×3, first 2 shown]
	v_cvt_f32_f16_e32 v1, v0
	v_cvt_f32_f16_e32 v0, v3
	v_cvt_f32_i32_e32 v3, v27
	v_pk_fma_f32 v[52:53], v[90:91], v[108:109], 0 op_sel_hi:[1,0,0]
	v_pk_fma_f32 v[90:91], v[90:91], v[16:17], 0 op_sel_hi:[1,0,0]
	v_pk_fma_f32 v[114:115], v[0:1], v[106:107], v[114:115] op_sel_hi:[1,0,1]
	v_cvt_f16_f32_e32 v3, v3
	v_pk_fma_f32 v[112:113], v[0:1], v[4:5], v[112:113] op_sel_hi:[1,0,1]
	v_pk_fma_f32 v[50:51], v[0:1], v[8:9], v[50:51] op_sel_hi:[1,0,1]
	;; [unrolled: 1-line block ×4, first 2 shown]
	v_cvt_f32_i32_e32 v4, v24
	v_cvt_f32_f16_e32 v91, v3
	v_cvt_f32_i32_e32 v3, v81
	v_cvt_f32_f16_e32 v8, v9
	v_cvt_f16_f32_e32 v4, v4
	v_cvt_f32_f16_e32 v12, v13
	v_cvt_f16_f32_e32 v3, v3
	v_cvt_f32_f16_e32 v16, v17
	v_cvt_f32_f16_e32 v90, v4
	;; [unrolled: 1-line block ×5, first 2 shown]
	v_pk_fma_f32 v[94:95], v[90:91], v[8:9], v[94:95] op_sel_hi:[1,0,1]
	v_pk_fma_f32 v[92:93], v[90:91], v[4:5], v[92:93] op_sel_hi:[1,0,1]
	;; [unrolled: 1-line block ×10, first 2 shown]
	v_cvt_f32_i32_e32 v2, v25
	v_cvt_f32_i32_e32 v3, v26
	v_cvt_f32_f16_sdwa v8, v9 dst_sel:DWORD dst_unused:UNUSED_PAD src0_sel:WORD_1
	v_cvt_f32_f16_sdwa v12, v13 dst_sel:DWORD dst_unused:UNUSED_PAD src0_sel:WORD_1
	v_cvt_f16_f32_e32 v2, v2
	v_cvt_f16_f32_e32 v4, v3
	v_cvt_f32_f16_sdwa v16, v17 dst_sel:DWORD dst_unused:UNUSED_PAD src0_sel:WORD_1
	v_cvt_f32_f16_sdwa v20, v21 dst_sel:DWORD dst_unused:UNUSED_PAD src0_sel:WORD_1
	v_cvt_f32_f16_e32 v3, v2
	v_cvt_f32_f16_e32 v2, v4
	v_cvt_f32_f16_sdwa v4, v5 dst_sel:DWORD dst_unused:UNUSED_PAD src0_sel:WORD_1
	v_pk_fma_f32 v[26:27], v[2:3], v[8:9], v[94:95] op_sel_hi:[1,0,1]
	v_pk_fma_f32 v[24:25], v[2:3], v[4:5], v[92:93] op_sel_hi:[1,0,1]
	v_cvt_f32_i32_e32 v5, v69
	v_cvt_f32_i32_e32 v9, v28
	v_pk_fma_f32 v[92:93], v[2:3], v[12:13], v[96:97] op_sel_hi:[1,0,1]
	v_pk_fma_f32 v[94:95], v[2:3], v[16:17], v[98:99] op_sel_hi:[1,0,1]
	v_cvt_f16_f32_e32 v5, v5
	v_cvt_f16_f32_e32 v9, v9
	v_pk_fma_f32 v[2:3], v[2:3], v[20:21], v[88:89] op_sel_hi:[1,0,1]
	v_cvt_f32_f16_e32 v88, v18
	v_cvt_f32_f16_e32 v29, v5
	;; [unrolled: 1-line block ×3, first 2 shown]
	v_cvt_f32_f16_sdwa v18, v18 dst_sel:DWORD dst_unused:UNUSED_PAD src0_sel:WORD_1
	v_cvt_f32_f16_sdwa v96, v19 dst_sel:DWORD dst_unused:UNUSED_PAD src0_sel:WORD_1
	v_pk_fma_f32 v[0:1], v[28:29], v[20:21], v[0:1] op_sel_hi:[1,0,1]
	v_cvt_f32_i32_e32 v20, v30
	v_cvt_f32_i32_e32 v21, v123
	v_pk_fma_f32 v[4:5], v[28:29], v[4:5], v[90:91] op_sel_hi:[1,0,1]
	v_pk_fma_f32 v[8:9], v[28:29], v[8:9], v[112:113] op_sel_hi:[1,0,1]
	v_pk_fma_f32 v[12:13], v[28:29], v[12:13], v[50:51] op_sel_hi:[1,0,1]
	v_pk_fma_f32 v[16:17], v[28:29], v[16:17], v[52:53] op_sel_hi:[1,0,1]
	v_cvt_f16_f32_e32 v20, v20
	v_cvt_f16_f32_e32 v28, v21
	v_cvt_f32_f16_e32 v50, v14
	v_cvt_f32_f16_e32 v30, v10
	;; [unrolled: 1-line block ×5, first 2 shown]
	v_cvt_f32_f16_sdwa v6, v6 dst_sel:DWORD dst_unused:UNUSED_PAD src0_sel:WORD_1
	v_cvt_f32_f16_sdwa v10, v10 dst_sel:DWORD dst_unused:UNUSED_PAD src0_sel:WORD_1
	v_pk_fma_f32 v[52:53], v[20:21], v[50:51], v[92:93] op_sel_hi:[1,0,1]
	v_cvt_f32_f16_e32 v92, v22
	v_pk_fma_f32 v[24:25], v[20:21], v[28:29], v[24:25] op_sel_hi:[1,0,1]
	v_pk_fma_f32 v[26:27], v[20:21], v[30:31], v[26:27] op_sel_hi:[1,0,1]
	;; [unrolled: 1-line block ×4, first 2 shown]
	v_cvt_f32_i32_e32 v20, v122
	v_cvt_f32_i32_e32 v21, v121
	v_cvt_f32_f16_sdwa v14, v14 dst_sel:DWORD dst_unused:UNUSED_PAD src0_sel:WORD_1
	v_cvt_f32_f16_sdwa v22, v22 dst_sel:DWORD dst_unused:UNUSED_PAD src0_sel:WORD_1
	v_cvt_f16_f32_e32 v20, v20
	v_cvt_f16_f32_e32 v29, v21
	v_cvt_f32_f16_e32 v94, v19
	v_cvt_f32_f16_e32 v21, v20
	v_cvt_f32_f16_e32 v20, v29
	v_pk_fma_f32 v[4:5], v[20:21], v[28:29], v[4:5] op_sel_hi:[1,0,1]
	v_pk_fma_f32 v[8:9], v[20:21], v[30:31], v[8:9] op_sel_hi:[1,0,1]
	;; [unrolled: 1-line block ×5, first 2 shown]
	v_cvt_f32_i32_e32 v20, v119
	v_cvt_f32_i32_e32 v21, v120
	v_cvt_f16_f32_e32 v20, v20
	v_cvt_f16_f32_e32 v28, v21
	v_cvt_f32_f16_e32 v21, v20
	v_cvt_f32_f16_e32 v20, v28
	v_pk_fma_f32 v[24:25], v[20:21], v[6:7], v[24:25] op_sel_hi:[1,0,1]
	v_pk_fma_f32 v[26:27], v[20:21], v[10:11], v[26:27] op_sel_hi:[1,0,1]
	;; [unrolled: 1-line block ×5, first 2 shown]
	v_cvt_f32_i32_e32 v20, v117
	v_cvt_f32_i32_e32 v21, v118
	v_cvt_f16_f32_e32 v20, v20
	v_cvt_f16_f32_e32 v30, v21
	v_cvt_f32_f16_e32 v21, v20
	v_cvt_f32_f16_e32 v20, v30
	v_cvt_f32_f16_sdwa v30, v15 dst_sel:DWORD dst_unused:UNUSED_PAD src0_sel:WORD_1
	v_pk_fma_f32 v[52:53], v[20:21], v[6:7], v[4:5] op_sel_hi:[1,0,1]
	v_pk_fma_f32 v[90:91], v[20:21], v[14:15], v[12:13] op_sel_hi:[1,0,1]
	;; [unrolled: 1-line block ×3, first 2 shown]
	v_cvt_f32_f16_e32 v0, v7
	v_cvt_f32_f16_sdwa v14, v7 dst_sel:DWORD dst_unused:UNUSED_PAD src0_sel:WORD_1
	v_cvt_f32_i32_e32 v1, v109
	v_cvt_f32_i32_e32 v7, v116
	v_pk_fma_f32 v[88:89], v[20:21], v[10:11], v[8:9] op_sel_hi:[1,0,1]
	v_pk_fma_f32 v[92:93], v[20:21], v[18:19], v[16:17] op_sel_hi:[1,0,1]
	v_cvt_f16_f32_e32 v1, v1
	v_cvt_f16_f32_e32 v7, v7
	v_cvt_f32_f16_e32 v16, v11
	v_cvt_f32_f16_sdwa v18, v11 dst_sel:DWORD dst_unused:UNUSED_PAD src0_sel:WORD_1
	v_cvt_f32_f16_e32 v11, v1
	v_cvt_f32_f16_e32 v10, v7
	v_cvt_f32_i32_e32 v7, v107
	v_cvt_f32_f16_e32 v22, v15
	v_cvt_f32_f16_e32 v8, v23
	v_pk_fma_f32 v[12:13], v[10:11], v[0:1], v[24:25] op_sel_hi:[1,0,1]
	v_cvt_f32_i32_e32 v1, v101
	v_cvt_f16_f32_e32 v7, v7
	v_cvt_f32_f16_sdwa v6, v23 dst_sel:DWORD dst_unused:UNUSED_PAD src0_sel:WORD_1
	v_pk_fma_f32 v[20:21], v[10:11], v[16:17], v[26:27] op_sel_hi:[1,0,1]
	v_cvt_f16_f32_e32 v1, v1
	v_pk_fma_f32 v[24:25], v[10:11], v[22:23], v[28:29] op_sel_hi:[1,0,1]
	v_pk_fma_f32 v[26:27], v[10:11], v[94:95], v[50:51] op_sel_hi:[1,0,1]
	v_pk_fma_f32 v[2:3], v[10:11], v[8:9], v[2:3] op_sel_hi:[1,0,1]
	v_cvt_f32_f16_e32 v11, v1
	v_cvt_f32_f16_e32 v10, v7
	v_cvt_f32_i32_e32 v1, v124
	v_cvt_f32_i32_e32 v9, v31
	v_pk_fma_f32 v[12:13], v[10:11], v[14:15], v[12:13] op_sel_hi:[1,0,1]
	v_pk_fma_f32 v[20:21], v[10:11], v[18:19], v[20:21] op_sel_hi:[1,0,1]
	;; [unrolled: 1-line block ×5, first 2 shown]
	v_cvt_f32_f16_sdwa v11, v126 dst_sel:DWORD dst_unused:UNUSED_PAD src0_sel:WORD_1
	v_cvt_f32_f16_e32 v10, v126
	v_cvt_f32_i32_e32 v7, v125
	v_cvt_f16_f32_e32 v1, v1
	v_cvt_f16_f32_e32 v9, v9
	v_pk_mul_f32 v[28:29], v[54:55], v[10:11]
	v_pk_mul_f32 v[50:51], v[56:57], v[10:11]
	;; [unrolled: 1-line block ×6, first 2 shown]
	buffer_load_dword v84, off, s[28:31], 0 offset:64 ; 4-byte Folded Reload
	buffer_load_dword v85, off, s[28:31], 0 offset:68 ; 4-byte Folded Reload
	;; [unrolled: 1-line block ×6, first 2 shown]
	v_cvt_f16_f32_e32 v7, v7
	v_pk_mul_f32 v[62:63], v[62:63], v[10:11]
	v_pk_mul_f32 v[82:83], v[82:83], v[10:11]
	;; [unrolled: 1-line block ×11, first 2 shown]
	v_cvt_f32_f16_e32 v12, v9
	v_cvt_f16_f32_e32 v9, v50
	v_cvt_f16_f32_e32 v25, v25
	;; [unrolled: 1-line block ×5, first 2 shown]
	s_waitcnt vmcnt(4)
	v_pk_mul_f32 v[84:85], v[84:85], v[10:11]
	s_waitcnt vmcnt(2)
	v_pk_mul_f32 v[86:87], v[86:87], v[10:11]
	;; [unrolled: 2-line block ×3, first 2 shown]
	v_cvt_f32_f16_e32 v10, v7
	v_cvt_f32_i32_e32 v7, v32
	v_cvt_f32_f16_e32 v11, v1
	v_cvt_f16_f32_e32 v7, v7
	v_pk_fma_f32 v[0:1], v[10:11], v[0:1], v[52:53] op_sel_hi:[1,0,1]
	v_cvt_f32_f16_e32 v13, v7
	v_cvt_f16_f32_e32 v7, v51
	v_pk_fma_f32 v[20:21], v[12:13], v[14:15], v[0:1] op_sel_hi:[1,0,1]
	v_pk_fma_f32 v[0:1], v[10:11], v[16:17], v[88:89] op_sel_hi:[1,0,1]
	;; [unrolled: 1-line block ×7, first 2 shown]
	v_cvt_f16_f32_e32 v0, v29
	v_cvt_f16_f32_e32 v1, v28
	;; [unrolled: 1-line block ×5, first 2 shown]
	v_pack_b32_f16 v0, v1, v0
	v_pack_b32_f16 v1, v9, v7
	v_cvt_f16_f32_e32 v7, v55
	v_cvt_f16_f32_e32 v9, v54
	v_pk_add_f16 v0, v79, v0
	v_pk_add_f16 v1, v103, v1
	v_cvt_f16_f32_e32 v29, v86
	v_pack_b32_f16 v7, v9, v7
	v_pk_add_f16 v0, v0, v7
	v_pack_b32_f16 v7, v23, v22
	v_cvt_f16_f32_e32 v9, v65
	v_cvt_f16_f32_e32 v22, v64
	;; [unrolled: 1-line block ×3, first 2 shown]
	v_pk_add_f16 v1, v1, v7
	v_cvt_f16_f32_e32 v30, v58
	v_pack_b32_f16 v7, v22, v9
	v_pk_add_f16 v0, v0, v7
	v_pack_b32_f16 v7, v28, v23
	v_cvt_f16_f32_e32 v9, v85
	v_cvt_f16_f32_e32 v22, v84
	;; [unrolled: 1-line block ×4, first 2 shown]
	v_pk_add_f16 v7, v1, v7
	v_pack_b32_f16 v1, v22, v9
	v_cvt_f16_f32_e32 v22, v83
	v_pack_b32_f16 v9, v28, v23
	v_cvt_f16_f32_e32 v23, v82
	v_cvt_f16_f32_e32 v28, v87
	v_pk_add_f16 v1, v71, v1
	v_pk_add_f16 v1, v1, v9
	v_pack_b32_f16 v9, v23, v22
	v_cvt_f16_f32_e32 v22, v61
	v_cvt_f16_f32_e32 v23, v60
	v_pk_add_f16 v1, v1, v9
	v_pack_b32_f16 v9, v29, v28
	v_cvt_f16_f32_e32 v28, v35
	v_cvt_f16_f32_e32 v29, v34
	v_pk_add_f16 v9, v68, v9
	v_pack_b32_f16 v22, v23, v22
	v_pk_add_f16 v9, v9, v22
	v_pack_b32_f16 v22, v29, v28
	v_cvt_f16_f32_e32 v23, v99
	v_cvt_f16_f32_e32 v28, v98
	;; [unrolled: 1-line block ×3, first 2 shown]
	v_pk_add_f16 v9, v9, v22
	v_cvt_f16_f32_e32 v31, v106
	v_pack_b32_f16 v22, v28, v23
	v_pack_b32_f16 v23, v30, v29
	v_cvt_f16_f32_e32 v28, v101
	v_cvt_f16_f32_e32 v29, v100
	v_pk_add_f16 v22, v80, v22
	v_cvt_f16_f32_e32 v30, v107
	v_pk_add_f16 v22, v22, v23
	v_pack_b32_f16 v23, v29, v28
	v_cvt_f16_f32_e32 v28, v109
	v_cvt_f16_f32_e32 v29, v108
	v_pk_add_f16 v22, v22, v23
	v_pack_b32_f16 v23, v31, v30
	v_pk_add_f16 v79, v0, v23
	v_pack_b32_f16 v0, v29, v28
	;; [unrolled: 2-line block ×3, first 2 shown]
	v_cvt_f16_f32_e32 v23, v27
	v_cvt_f16_f32_e32 v24, v26
	v_pk_add_f16 v68, v9, v0
	v_cvt_f32_f16_sdwa v1, v127 dst_sel:DWORD dst_unused:UNUSED_PAD src0_sel:WORD_1
	v_cvt_f32_f16_e32 v0, v127
	v_pack_b32_f16 v9, v24, v23
	v_pk_add_f16 v80, v22, v9
	v_pack_b32_f16 v9, v2, v3
	buffer_load_dword v2, off, s[28:31], 0 offset:40 ; 4-byte Folded Reload
	buffer_load_dword v3, off, s[28:31], 0 offset:44 ; 4-byte Folded Reload
	v_pk_add_f16 v103, v7, v9
	buffer_load_dword v9, off, s[28:31], 0 offset:4 ; 4-byte Folded Reload
	s_waitcnt vmcnt(1)
	v_pk_mul_f32 v[2:3], v[2:3], v[0:1]
	v_cvt_f16_f32_e32 v22, v3
	v_cvt_f16_f32_e32 v23, v2
	v_pk_mul_f32 v[2:3], v[40:41], v[0:1]
	v_cvt_f16_f32_e32 v3, v3
	v_cvt_f16_f32_e32 v2, v2
	v_pack_b32_f16 v7, v23, v22
	s_waitcnt vmcnt(0)
	v_pk_add_f16 v7, v9, v7
	v_pack_b32_f16 v9, v2, v3
	v_pk_mul_f32 v[2:3], v[76:77], v[0:1]
	v_cvt_f16_f32_e32 v22, v3
	v_cvt_f16_f32_e32 v23, v2
	buffer_load_dword v2, off, s[28:31], 0 offset:32 ; 4-byte Folded Reload
	buffer_load_dword v3, off, s[28:31], 0 offset:36 ; 4-byte Folded Reload
	v_pk_add_f16 v7, v7, v9
	v_pack_b32_f16 v9, v23, v22
	v_pk_add_f16 v7, v7, v9
	s_waitcnt vmcnt(0)
	v_pk_mul_f32 v[2:3], v[2:3], v[0:1]
	v_cvt_f16_f32_e32 v3, v3
	v_cvt_f16_f32_e32 v2, v2
	v_pack_b32_f16 v9, v2, v3
	v_pk_mul_f32 v[2:3], v[36:37], v[0:1]
	v_cvt_f16_f32_e32 v22, v3
	v_cvt_f16_f32_e32 v23, v2
	v_pk_mul_f32 v[2:3], v[74:75], v[0:1]
	v_cvt_f16_f32_e32 v3, v3
	v_cvt_f16_f32_e32 v2, v2
	v_pk_add_f16 v9, v78, v9
	v_pack_b32_f16 v22, v23, v22
	v_pk_add_f16 v9, v9, v22
	v_pack_b32_f16 v22, v2, v3
	buffer_load_dword v2, off, s[28:31], 0 offset:24 ; 4-byte Folded Reload
	buffer_load_dword v3, off, s[28:31], 0 offset:28 ; 4-byte Folded Reload
	v_pk_add_f16 v9, v9, v22
	s_waitcnt vmcnt(0)
	v_pk_mul_f32 v[2:3], v[2:3], v[0:1]
	v_cvt_f16_f32_e32 v23, v3
	v_cvt_f16_f32_e32 v24, v2
	v_pk_mul_f32 v[2:3], v[38:39], v[0:1]
	v_cvt_f16_f32_e32 v3, v3
	v_cvt_f16_f32_e32 v2, v2
	v_pack_b32_f16 v22, v24, v23
	v_pk_add_f16 v22, v70, v22
	v_pack_b32_f16 v23, v2, v3
	v_pk_mul_f32 v[2:3], v[72:73], v[0:1]
	v_cvt_f16_f32_e32 v24, v3
	v_cvt_f16_f32_e32 v25, v2
	buffer_load_dword v2, off, s[28:31], 0 offset:16 ; 4-byte Folded Reload
	buffer_load_dword v3, off, s[28:31], 0 offset:20 ; 4-byte Folded Reload
	v_pk_add_f16 v22, v22, v23
	v_pack_b32_f16 v23, v25, v24
	v_pk_add_f16 v22, v22, v23
	s_waitcnt vmcnt(0)
	v_pk_mul_f32 v[2:3], v[2:3], v[0:1]
	v_cvt_f16_f32_e32 v3, v3
	v_cvt_f16_f32_e32 v2, v2
	v_pack_b32_f16 v23, v2, v3
	v_pk_mul_f32 v[2:3], v[46:47], v[0:1]
	v_cvt_f16_f32_e32 v24, v3
	v_cvt_f16_f32_e32 v25, v2
	v_pk_mul_f32 v[2:3], v[44:45], v[0:1]
	v_cvt_f16_f32_e32 v3, v3
	v_cvt_f16_f32_e32 v2, v2
	v_pk_add_f16 v23, v105, v23
	v_pack_b32_f16 v24, v25, v24
	v_pk_add_f16 v23, v23, v24
	v_pack_b32_f16 v24, v2, v3
	buffer_load_dword v2, off, s[28:31], 0 offset:8 ; 4-byte Folded Reload
	buffer_load_dword v3, off, s[28:31], 0 offset:12 ; 4-byte Folded Reload
	v_pk_add_f16 v23, v23, v24
	s_waitcnt vmcnt(0)
	v_pk_mul_f32 v[2:3], v[2:3], v[0:1]
	v_cvt_f16_f32_e32 v25, v3
	v_cvt_f16_f32_e32 v26, v2
	v_pk_mul_f32 v[2:3], v[48:49], v[0:1]
	v_cvt_f16_f32_e32 v3, v3
	v_cvt_f16_f32_e32 v2, v2
	v_pack_b32_f16 v24, v26, v25
	buffer_load_dword v25, off, s[28:31], 0 ; 4-byte Folded Reload
	s_waitcnt vmcnt(0)
	v_pk_add_f16 v24, v25, v24
	v_pack_b32_f16 v25, v2, v3
	v_pk_mul_f32 v[2:3], v[42:43], v[0:1]
	v_cvt_f16_f32_e32 v26, v3
	v_cvt_f16_f32_e32 v27, v2
	v_pk_mul_f32 v[2:3], v[20:21], v[0:1]
	v_cvt_f16_f32_e32 v3, v3
	v_cvt_f16_f32_e32 v2, v2
	v_pk_add_f16 v20, v24, v25
	v_pack_b32_f16 v21, v27, v26
	v_pk_add_f16 v20, v20, v21
	v_pack_b32_f16 v21, v2, v3
	v_pk_mul_f32 v[2:3], v[18:19], v[0:1]
	v_cvt_f16_f32_e32 v18, v3
	v_cvt_f16_f32_e32 v19, v2
	v_pk_mul_f32 v[2:3], v[16:17], v[0:1]
	v_cvt_f16_f32_e32 v3, v3
	v_cvt_f16_f32_e32 v2, v2
	v_pk_add_f16 v78, v9, v21
	v_pack_b32_f16 v9, v19, v18
	v_pk_add_f16 v70, v22, v9
	v_pack_b32_f16 v9, v2, v3
	v_pk_mul_f32 v[2:3], v[14:15], v[0:1]
	v_cvt_f16_f32_e32 v14, v3
	v_cvt_f16_f32_e32 v15, v2
	v_pk_fma_f32 v[2:3], v[10:11], v[8:9], v[4:5] op_sel_hi:[1,0,1]
	v_pk_fma_f32 v[2:3], v[12:13], v[6:7], v[2:3] op_sel_hi:[1,0,1]
	v_pk_mul_f32 v[0:1], v[2:3], v[0:1]
	v_cvt_f16_f32_e32 v1, v1
	v_cvt_f16_f32_e32 v0, v0
	v_pack_b32_f16 v2, v15, v14
	v_pk_add_f16 v105, v23, v9
	v_pk_add_f16 v6, v20, v2
	v_pack_b32_f16 v0, v0, v1
	v_pk_add_f16 v7, v7, v0
	s_cbranch_scc1 .LBB34_19
; %bb.18:
	buffer_load_dword v12, off, s[28:31], 0 offset:96 ; 4-byte Folded Reload
	buffer_load_dword v13, off, s[28:31], 0 offset:100 ; 4-byte Folded Reload
	;; [unrolled: 1-line block ×8, first 2 shown]
	s_waitcnt vmcnt(1)
	v_mov_b32_e32 v12, v2
	buffer_load_dword v0, off, s[28:31], 0 offset:128 ; 4-byte Folded Reload
	buffer_load_dword v1, off, s[28:31], 0 offset:132 ; 4-byte Folded Reload
	;; [unrolled: 1-line block ×4, first 2 shown]
	s_waitcnt vmcnt(0)
	v_mov_b32_e32 v15, v3
	s_cmp_lg_u32 s24, s5
	buffer_store_dword v6, off, s[28:31], 0 ; 4-byte Folded Spill
	buffer_store_dword v7, off, s[28:31], 0 offset:4 ; 4-byte Folded Spill
	s_cbranch_scc1 .LBB34_16
	s_branch .LBB34_15
.LBB34_19:
	buffer_load_dword v0, off, s[28:31], 0 offset:228 ; 4-byte Folded Reload
	buffer_load_dword v1, off, s[28:31], 0 offset:232 ; 4-byte Folded Reload
	s_mul_i32 s7, s7, s20
	s_mov_b64 s[0:1], 0
	s_waitcnt vmcnt(1)
	v_add_u32_e32 v0, s7, v0
	s_waitcnt vmcnt(0)
	v_ashrrev_i32_e32 v1, 31, v0
	v_lshlrev_b64 v[2:3], 1, v[0:1]
	v_mov_b32_e32 v1, s19
	v_add_co_u32_e32 v2, vcc, s18, v2
	v_addc_co_u32_e32 v3, vcc, v1, v3, vcc
	global_load_dword v5, v[2:3], off
.LBB34_20:                              ; =>This Inner Loop Header: Depth=1
	s_waitcnt vmcnt(0)
	v_pk_add_f16 v4, v79, v5
	global_atomic_cmpswap v1, v[2:3], v[4:5], off glc
	s_waitcnt vmcnt(0)
	v_cmp_eq_u32_e32 vcc, v5, v1
	s_or_b64 s[0:1], vcc, s[0:1]
	v_mov_b32_e32 v5, v1
	s_andn2_b64 exec, exec, s[0:1]
	s_cbranch_execnz .LBB34_20
; %bb.21:
	s_or_b64 exec, exec, s[0:1]
	global_load_dword v5, v[2:3], off offset:4
	s_mov_b64 s[0:1], 0
.LBB34_22:                              ; =>This Inner Loop Header: Depth=1
	s_waitcnt vmcnt(0)
	v_pk_add_f16 v4, v78, v5
	global_atomic_cmpswap v1, v[2:3], v[4:5], off offset:4 glc
	s_waitcnt vmcnt(0)
	v_cmp_eq_u32_e32 vcc, v5, v1
	s_or_b64 s[0:1], vcc, s[0:1]
	v_mov_b32_e32 v5, v1
	s_andn2_b64 exec, exec, s[0:1]
	s_cbranch_execnz .LBB34_22
; %bb.23:
	s_or_b64 exec, exec, s[0:1]
	v_add_u32_e32 v0, s20, v0
	v_ashrrev_i32_e32 v1, 31, v0
	v_lshlrev_b64 v[2:3], 1, v[0:1]
	v_mov_b32_e32 v1, s19
	v_add_co_u32_e32 v2, vcc, s18, v2
	v_addc_co_u32_e32 v3, vcc, v1, v3, vcc
	global_load_dword v5, v[2:3], off
	s_mov_b64 s[0:1], 0
.LBB34_24:                              ; =>This Inner Loop Header: Depth=1
	s_waitcnt vmcnt(0)
	v_pk_add_f16 v4, v71, v5
	global_atomic_cmpswap v1, v[2:3], v[4:5], off glc
	s_waitcnt vmcnt(0)
	v_cmp_eq_u32_e32 vcc, v5, v1
	s_or_b64 s[0:1], vcc, s[0:1]
	v_mov_b32_e32 v5, v1
	s_andn2_b64 exec, exec, s[0:1]
	s_cbranch_execnz .LBB34_24
; %bb.25:
	s_or_b64 exec, exec, s[0:1]
	global_load_dword v5, v[2:3], off offset:4
	s_mov_b64 s[0:1], 0
.LBB34_26:                              ; =>This Inner Loop Header: Depth=1
	s_waitcnt vmcnt(0)
	v_pk_add_f16 v4, v70, v5
	global_atomic_cmpswap v1, v[2:3], v[4:5], off offset:4 glc
	s_waitcnt vmcnt(0)
	v_cmp_eq_u32_e32 vcc, v5, v1
	s_or_b64 s[0:1], vcc, s[0:1]
	v_mov_b32_e32 v5, v1
	s_andn2_b64 exec, exec, s[0:1]
	s_cbranch_execnz .LBB34_26
; %bb.27:
	s_or_b64 exec, exec, s[0:1]
	v_add_u32_e32 v0, s20, v0
	v_ashrrev_i32_e32 v1, 31, v0
	v_lshlrev_b64 v[2:3], 1, v[0:1]
	v_mov_b32_e32 v1, s19
	v_add_co_u32_e32 v2, vcc, s18, v2
	v_addc_co_u32_e32 v3, vcc, v1, v3, vcc
	global_load_dword v5, v[2:3], off
	s_mov_b64 s[0:1], 0
.LBB34_28:                              ; =>This Inner Loop Header: Depth=1
	s_waitcnt vmcnt(0)
	v_pk_add_f16 v4, v68, v5
	global_atomic_cmpswap v1, v[2:3], v[4:5], off glc
	s_waitcnt vmcnt(0)
	v_cmp_eq_u32_e32 vcc, v5, v1
	s_or_b64 s[0:1], vcc, s[0:1]
	v_mov_b32_e32 v5, v1
	s_andn2_b64 exec, exec, s[0:1]
	s_cbranch_execnz .LBB34_28
; %bb.29:
	s_or_b64 exec, exec, s[0:1]
	global_load_dword v5, v[2:3], off offset:4
	s_mov_b64 s[0:1], 0
.LBB34_30:                              ; =>This Inner Loop Header: Depth=1
	s_waitcnt vmcnt(0)
	v_pk_add_f16 v4, v105, v5
	global_atomic_cmpswap v1, v[2:3], v[4:5], off offset:4 glc
	s_waitcnt vmcnt(0)
	v_cmp_eq_u32_e32 vcc, v5, v1
	s_or_b64 s[0:1], vcc, s[0:1]
	v_mov_b32_e32 v5, v1
	s_andn2_b64 exec, exec, s[0:1]
	s_cbranch_execnz .LBB34_30
; %bb.31:
	s_or_b64 exec, exec, s[0:1]
	v_add_u32_e32 v0, s20, v0
	v_ashrrev_i32_e32 v1, 31, v0
	v_lshlrev_b64 v[2:3], 1, v[0:1]
	v_mov_b32_e32 v1, s19
	v_add_co_u32_e32 v2, vcc, s18, v2
	v_addc_co_u32_e32 v3, vcc, v1, v3, vcc
	global_load_dword v5, v[2:3], off
	s_mov_b64 s[0:1], 0
.LBB34_32:                              ; =>This Inner Loop Header: Depth=1
	s_waitcnt vmcnt(0)
	v_pk_add_f16 v4, v80, v5
	global_atomic_cmpswap v1, v[2:3], v[4:5], off glc
	s_waitcnt vmcnt(0)
	v_cmp_eq_u32_e32 vcc, v5, v1
	s_or_b64 s[0:1], vcc, s[0:1]
	v_mov_b32_e32 v5, v1
	s_andn2_b64 exec, exec, s[0:1]
	s_cbranch_execnz .LBB34_32
; %bb.33:
	s_or_b64 exec, exec, s[0:1]
	global_load_dword v5, v[2:3], off offset:4
	s_mov_b64 s[0:1], 0
.LBB34_34:                              ; =>This Inner Loop Header: Depth=1
	s_waitcnt vmcnt(0)
	v_pk_add_f16 v4, v6, v5
	global_atomic_cmpswap v1, v[2:3], v[4:5], off offset:4 glc
	s_waitcnt vmcnt(0)
	v_cmp_eq_u32_e32 vcc, v5, v1
	s_or_b64 s[0:1], vcc, s[0:1]
	v_mov_b32_e32 v5, v1
	s_andn2_b64 exec, exec, s[0:1]
	s_cbranch_execnz .LBB34_34
; %bb.35:
	s_or_b64 exec, exec, s[0:1]
	v_add_u32_e32 v0, s20, v0
	v_ashrrev_i32_e32 v1, 31, v0
	v_lshlrev_b64 v[0:1], 1, v[0:1]
	v_mov_b32_e32 v2, s19
	v_add_co_u32_e32 v0, vcc, s18, v0
	v_addc_co_u32_e32 v1, vcc, v2, v1, vcc
	global_load_dword v3, v[0:1], off
	s_mov_b64 s[0:1], 0
.LBB34_36:                              ; =>This Inner Loop Header: Depth=1
	s_waitcnt vmcnt(0)
	v_pk_add_f16 v2, v103, v3
	global_atomic_cmpswap v2, v[0:1], v[2:3], off glc
	s_waitcnt vmcnt(0)
	v_cmp_eq_u32_e32 vcc, v3, v2
	s_or_b64 s[0:1], vcc, s[0:1]
	v_mov_b32_e32 v3, v2
	s_andn2_b64 exec, exec, s[0:1]
	s_cbranch_execnz .LBB34_36
; %bb.37:
	s_or_b64 exec, exec, s[0:1]
	global_load_dword v3, v[0:1], off offset:4
	s_mov_b64 s[0:1], 0
.LBB34_38:                              ; =>This Inner Loop Header: Depth=1
	s_waitcnt vmcnt(0)
	v_pk_add_f16 v2, v7, v3
	global_atomic_cmpswap v2, v[0:1], v[2:3], off offset:4 glc
	s_waitcnt vmcnt(0)
	v_cmp_eq_u32_e32 vcc, v3, v2
	s_or_b64 s[0:1], vcc, s[0:1]
	v_mov_b32_e32 v3, v2
	s_andn2_b64 exec, exec, s[0:1]
	s_cbranch_execnz .LBB34_38
.LBB34_39:
	s_endpgm
	.section	.rodata,"a",@progbits
	.p2align	6, 0x0
	.amdhsa_kernel _ZN4vllm4gptq33gemm_half_q_half_gptq_8bit_kernelILb1ELi5EEEvPK6__halfPKjS6_S4_PS2_iiiibPKi
		.amdhsa_group_segment_fixed_size 1280
		.amdhsa_private_segment_fixed_size 244
		.amdhsa_kernarg_size 72
		.amdhsa_user_sgpr_count 6
		.amdhsa_user_sgpr_private_segment_buffer 1
		.amdhsa_user_sgpr_dispatch_ptr 0
		.amdhsa_user_sgpr_queue_ptr 0
		.amdhsa_user_sgpr_kernarg_segment_ptr 1
		.amdhsa_user_sgpr_dispatch_id 0
		.amdhsa_user_sgpr_flat_scratch_init 0
		.amdhsa_user_sgpr_kernarg_preload_length 0
		.amdhsa_user_sgpr_kernarg_preload_offset 0
		.amdhsa_user_sgpr_private_segment_size 0
		.amdhsa_uses_dynamic_stack 0
		.amdhsa_system_sgpr_private_segment_wavefront_offset 1
		.amdhsa_system_sgpr_workgroup_id_x 1
		.amdhsa_system_sgpr_workgroup_id_y 1
		.amdhsa_system_sgpr_workgroup_id_z 1
		.amdhsa_system_sgpr_workgroup_info 0
		.amdhsa_system_vgpr_workitem_id 0
		.amdhsa_next_free_vgpr 128
		.amdhsa_next_free_sgpr 32
		.amdhsa_accum_offset 128
		.amdhsa_reserve_vcc 1
		.amdhsa_reserve_flat_scratch 0
		.amdhsa_float_round_mode_32 0
		.amdhsa_float_round_mode_16_64 0
		.amdhsa_float_denorm_mode_32 3
		.amdhsa_float_denorm_mode_16_64 3
		.amdhsa_dx10_clamp 1
		.amdhsa_ieee_mode 1
		.amdhsa_fp16_overflow 0
		.amdhsa_tg_split 0
		.amdhsa_exception_fp_ieee_invalid_op 0
		.amdhsa_exception_fp_denorm_src 0
		.amdhsa_exception_fp_ieee_div_zero 0
		.amdhsa_exception_fp_ieee_overflow 0
		.amdhsa_exception_fp_ieee_underflow 0
		.amdhsa_exception_fp_ieee_inexact 0
		.amdhsa_exception_int_div_zero 0
	.end_amdhsa_kernel
	.section	.text._ZN4vllm4gptq33gemm_half_q_half_gptq_8bit_kernelILb1ELi5EEEvPK6__halfPKjS6_S4_PS2_iiiibPKi,"axG",@progbits,_ZN4vllm4gptq33gemm_half_q_half_gptq_8bit_kernelILb1ELi5EEEvPK6__halfPKjS6_S4_PS2_iiiibPKi,comdat
.Lfunc_end34:
	.size	_ZN4vllm4gptq33gemm_half_q_half_gptq_8bit_kernelILb1ELi5EEEvPK6__halfPKjS6_S4_PS2_iiiibPKi, .Lfunc_end34-_ZN4vllm4gptq33gemm_half_q_half_gptq_8bit_kernelILb1ELi5EEEvPK6__halfPKjS6_S4_PS2_iiiibPKi
                                        ; -- End function
	.section	.AMDGPU.csdata,"",@progbits
; Kernel info:
; codeLenInByte = 11352
; NumSgprs: 36
; NumVgprs: 128
; NumAgprs: 0
; TotalNumVgprs: 128
; ScratchSize: 244
; MemoryBound: 0
; FloatMode: 240
; IeeeMode: 1
; LDSByteSize: 1280 bytes/workgroup (compile time only)
; SGPRBlocks: 4
; VGPRBlocks: 15
; NumSGPRsForWavesPerEU: 36
; NumVGPRsForWavesPerEU: 128
; AccumOffset: 128
; Occupancy: 4
; WaveLimiterHint : 0
; COMPUTE_PGM_RSRC2:SCRATCH_EN: 1
; COMPUTE_PGM_RSRC2:USER_SGPR: 6
; COMPUTE_PGM_RSRC2:TRAP_HANDLER: 0
; COMPUTE_PGM_RSRC2:TGID_X_EN: 1
; COMPUTE_PGM_RSRC2:TGID_Y_EN: 1
; COMPUTE_PGM_RSRC2:TGID_Z_EN: 1
; COMPUTE_PGM_RSRC2:TIDIG_COMP_CNT: 0
; COMPUTE_PGM_RSRC3_GFX90A:ACCUM_OFFSET: 31
; COMPUTE_PGM_RSRC3_GFX90A:TG_SPLIT: 0
	.section	.text._ZN4vllm4gptq33gemm_half_q_half_gptq_2bit_kernelILb1ELi6EEEvPK6__halfPKjS6_S4_PS2_iiiibPKi,"axG",@progbits,_ZN4vllm4gptq33gemm_half_q_half_gptq_2bit_kernelILb1ELi6EEEvPK6__halfPKjS6_S4_PS2_iiiibPKi,comdat
	.protected	_ZN4vllm4gptq33gemm_half_q_half_gptq_2bit_kernelILb1ELi6EEEvPK6__halfPKjS6_S4_PS2_iiiibPKi ; -- Begin function _ZN4vllm4gptq33gemm_half_q_half_gptq_2bit_kernelILb1ELi6EEEvPK6__halfPKjS6_S4_PS2_iiiibPKi
	.globl	_ZN4vllm4gptq33gemm_half_q_half_gptq_2bit_kernelILb1ELi6EEEvPK6__halfPKjS6_S4_PS2_iiiibPKi
	.p2align	8
	.type	_ZN4vllm4gptq33gemm_half_q_half_gptq_2bit_kernelILb1ELi6EEEvPK6__halfPKjS6_S4_PS2_iiiibPKi,@function
_ZN4vllm4gptq33gemm_half_q_half_gptq_2bit_kernelILb1ELi6EEEvPK6__halfPKjS6_S4_PS2_iiiibPKi: ; @_ZN4vllm4gptq33gemm_half_q_half_gptq_2bit_kernelILb1ELi6EEEvPK6__halfPKjS6_S4_PS2_iiiibPKi
; %bb.0:
	s_load_dwordx8 s[12:19], s[4:5], 0x8
	s_load_dwordx4 s[20:23], s[4:5], 0x2c
	s_lshl_b32 s24, s8, 7
	s_add_i32 s0, s24, 0x80
	v_cvt_f64_u32_e32 v[2:3], s0
	s_mul_i32 s7, s7, 6
	s_waitcnt lgkmcnt(0)
	v_cvt_f64_i32_e32 v[4:5], s21
	v_min_f64 v[2:3], v[2:3], v[4:5]
	v_cvt_i32_f64_e32 v1, v[2:3]
	v_add_u32_e32 v2, s24, v0
	v_readfirstlane_b32 s25, v1
	v_cmp_lt_u32_e32 vcc, v2, v1
	s_and_saveexec_b64 s[2:3], vcc
	s_cbranch_execz .LBB35_14
; %bb.1:
	s_load_dwordx2 s[0:1], s[4:5], 0x40
	s_load_dwordx2 s[8:9], s[4:5], 0x0
	v_mov_b32_e32 v3, 0
	v_lshlrev_b64 v[4:5], 2, v[2:3]
	v_pk_mov_b32 v[6:7], v[2:3], v[2:3] op_sel:[0,1]
	s_waitcnt lgkmcnt(0)
	s_cmp_lg_u64 s[0:1], 0
	v_mov_b32_e32 v1, s1
	v_add_co_u32_e32 v4, vcc, s0, v4
	s_cselect_b64 s[4:5], -1, 0
	s_cmp_eq_u64 s[0:1], 0
	v_addc_co_u32_e32 v5, vcc, v1, v5, vcc
	s_cbranch_scc1 .LBB35_3
; %bb.2:
	global_load_dword v6, v[4:5], off
	s_waitcnt vmcnt(0)
	v_ashrrev_i32_e32 v7, 31, v6
.LBB35_3:
	s_mul_i32 s10, s7, s21
	s_ashr_i32 s11, s10, 31
	s_lshl_b64 s[0:1], s[10:11], 1
	s_add_u32 s0, s8, s0
	s_addc_u32 s1, s9, s1
	v_lshlrev_b64 v[6:7], 1, v[6:7]
	v_mov_b32_e32 v1, s1
	v_add_co_u32_e32 v6, vcc, s0, v6
	v_addc_co_u32_e32 v7, vcc, v1, v7, vcc
	global_load_ushort v6, v[6:7], off
	v_lshlrev_b32_e32 v1, 1, v0
	v_cndmask_b32_e64 v7, 0, 1, s[4:5]
	v_cmp_ne_u32_e64 s[0:1], 1, v7
	s_andn2_b64 vcc, exec, s[4:5]
	s_waitcnt vmcnt(0)
	ds_write_b16 v1, v6
	v_pk_mov_b32 v[6:7], v[2:3], v[2:3] op_sel:[0,1]
	s_cbranch_vccnz .LBB35_5
; %bb.4:
	global_load_dword v6, v[4:5], off
	s_waitcnt vmcnt(0)
	v_ashrrev_i32_e32 v7, 31, v6
.LBB35_5:
	s_add_i32 s4, s10, s21
	s_ashr_i32 s5, s4, 31
	s_lshl_b64 s[10:11], s[4:5], 1
	s_add_u32 s5, s8, s10
	s_addc_u32 s10, s9, s11
	v_lshlrev_b64 v[6:7], 1, v[6:7]
	v_mov_b32_e32 v8, s10
	v_add_co_u32_e32 v6, vcc, s5, v6
	v_addc_co_u32_e32 v7, vcc, v8, v7, vcc
	global_load_ushort v6, v[6:7], off
	s_and_b64 vcc, exec, s[0:1]
	s_waitcnt vmcnt(0)
	ds_write_b16 v1, v6 offset:256
	v_pk_mov_b32 v[6:7], v[2:3], v[2:3] op_sel:[0,1]
	s_cbranch_vccnz .LBB35_7
; %bb.6:
	global_load_dword v6, v[4:5], off
	s_waitcnt vmcnt(0)
	v_ashrrev_i32_e32 v7, 31, v6
.LBB35_7:
	s_add_i32 s4, s4, s21
	s_ashr_i32 s5, s4, 31
	s_lshl_b64 s[10:11], s[4:5], 1
	s_add_u32 s5, s8, s10
	s_addc_u32 s10, s9, s11
	v_lshlrev_b64 v[6:7], 1, v[6:7]
	v_mov_b32_e32 v8, s10
	v_add_co_u32_e32 v6, vcc, s5, v6
	v_addc_co_u32_e32 v7, vcc, v8, v7, vcc
	global_load_ushort v6, v[6:7], off
	s_and_b64 vcc, exec, s[0:1]
	s_waitcnt vmcnt(0)
	ds_write_b16 v1, v6 offset:512
	;; [unrolled: 20-line block ×4, first 2 shown]
	s_cbranch_vccnz .LBB35_13
; %bb.12:
	global_load_dword v2, v[4:5], off
	s_waitcnt vmcnt(0)
	v_ashrrev_i32_e32 v3, 31, v2
.LBB35_13:
	s_add_i32 s0, s4, s21
	s_ashr_i32 s1, s0, 31
	s_lshl_b64 s[0:1], s[0:1], 1
	s_add_u32 s0, s8, s0
	s_addc_u32 s1, s9, s1
	v_lshlrev_b64 v[2:3], 1, v[2:3]
	v_mov_b32_e32 v4, s1
	v_add_co_u32_e32 v2, vcc, s0, v2
	v_addc_co_u32_e32 v3, vcc, v4, v3, vcc
	global_load_ushort v2, v[2:3], off
	s_waitcnt vmcnt(0)
	ds_write_b16 v1, v2 offset:1280
.LBB35_14:
	s_or_b64 exec, exec, s[2:3]
	v_lshlrev_b32_e32 v1, 2, v0
	v_lshl_add_u32 v4, s6, 9, v1
	v_cmp_gt_i32_e32 vcc, s20, v4
	s_and_saveexec_b64 s[0:1], vcc
	s_cbranch_execz .LBB35_44
; %bb.15:
	s_abs_i32 s0, s22
	v_cvt_f32_u32_e32 v1, s0
	s_mov_b32 s2, 0
	v_mov_b32_e32 v24, 0
	v_mov_b32_e32 v23, 0
	v_rcp_iflag_f32_e32 v1, v1
	v_mov_b32_e32 v21, 0
	v_mov_b32_e32 v20, 0
	s_cmp_ge_i32 s24, s25
	v_mul_f32_e32 v1, 0x4f7ffffe, v1
	v_cvt_u32_f32_e32 v1, v1
	v_mov_b32_e32 v19, 0
	v_mov_b32_e32 v18, 0
	;; [unrolled: 1-line block ×3, first 2 shown]
	v_readfirstlane_b32 s1, v1
	v_mov_b32_e32 v16, 0
	v_mov_b32_e32 v15, 0
	;; [unrolled: 1-line block ×5, first 2 shown]
	s_waitcnt lgkmcnt(0)
	s_barrier
	s_cbranch_scc1 .LBB35_20
; %bb.16:
	s_sub_i32 s6, 0, s0
	s_mul_i32 s6, s6, s1
	s_mul_hi_u32 s6, s1, s6
	s_abs_i32 s5, s21
	s_add_i32 s1, s1, s6
	s_ashr_i32 s3, s21, 31
	s_ashr_i32 s4, s22, 31
	s_mul_hi_u32 s1, s5, s1
	s_xor_b32 s3, s3, s4
	s_mul_i32 s4, s1, s0
	s_sub_i32 s4, s5, s4
	s_add_i32 s5, s1, 1
	s_sub_i32 s6, s4, s0
	s_cmp_ge_u32 s4, s0
	s_cselect_b32 s1, s5, s1
	s_cselect_b32 s4, s6, s4
	s_add_i32 s5, s1, 1
	s_cmp_ge_u32 s4, s0
	s_cselect_b32 s0, s5, s1
	s_xor_b32 s0, s0, s3
	s_sub_i32 s3, s0, s3
	v_cvt_f32_u32_e32 v1, s3
	s_bitcmp1_b32 s23, 0
	s_cselect_b64 s[0:1], -1, 0
	s_sub_i32 s4, 0, s3
	v_rcp_iflag_f32_e32 v1, v1
	s_xor_b64 s[0:1], s[0:1], -1
	v_ashrrev_i32_e32 v5, 31, v4
	v_lshrrev_b32_e32 v2, 28, v5
	v_mul_f32_e32 v1, 0x4f7ffffe, v1
	v_cvt_u32_f32_e32 v1, v1
	v_add_u32_e32 v2, v4, v2
	v_ashrrev_i32_e32 v22, 4, v2
	v_mov_b32_e32 v12, 0
	v_readfirstlane_b32 s5, v1
	s_mul_i32 s4, s4, s5
	s_mul_hi_u32 s4, s5, s4
	s_add_i32 s5, s5, s4
	s_mul_hi_u32 s4, s24, s5
	s_mul_i32 s5, s4, s3
	s_sub_i32 s5, s24, s5
	s_add_i32 s6, s4, 1
	s_sub_i32 s8, s5, s3
	s_cmp_ge_u32 s5, s3
	s_cselect_b32 s4, s6, s4
	s_cselect_b32 s5, s8, s5
	s_add_i32 s6, s4, 1
	s_cmp_ge_u32 s5, s3
	s_cselect_b32 s4, s6, s4
	s_mul_i32 s5, s4, s20
	s_ashr_i32 s6, s5, 31
	s_lshr_b32 s6, s6, 28
	v_add_u32_e32 v2, s5, v4
	s_add_i32 s5, s5, s6
	s_ashr_i32 s5, s5, 4
	v_add_u32_e32 v6, s5, v22
	v_ashrrev_i32_e32 v7, 31, v6
	v_lshlrev_b64 v[6:7], 2, v[6:7]
	v_ashrrev_i32_e32 v3, 31, v2
	v_mov_b32_e32 v1, s15
	v_add_co_u32_e32 v6, vcc, s14, v6
	v_lshlrev_b64 v[2:3], 1, v[2:3]
	v_addc_co_u32_e32 v7, vcc, v1, v7, vcc
	global_load_dword v10, v[6:7], off
	v_mov_b32_e32 v1, s17
	v_add_co_u32_e32 v2, vcc, s16, v2
	v_addc_co_u32_e32 v3, vcc, v1, v3, vcc
	global_load_dwordx2 v[6:7], v[2:3], off
	v_lshlrev_b32_e32 v2, 3, v0
	v_lshlrev_b64 v[0:1], 2, v[4:5]
	v_cndmask_b32_e64 v5, 0, 1, s[0:1]
	s_lshr_b32 s0, s24, 4
	s_mul_i32 s0, s0, s20
	s_ashr_i32 s1, s0, 31
	s_add_i32 s10, s3, s24
	s_ashr_i32 s21, s20, 31
	s_lshl_b64 s[0:1], s[0:1], 2
	s_add_u32 s11, s12, s0
	s_addc_u32 s12, s13, s1
	v_mov_b32_e32 v3, s12
	v_add_co_u32_e32 v0, vcc, s11, v0
	v_addc_co_u32_e32 v1, vcc, v3, v1, vcc
	v_and_b32_e32 v25, 24, v2
	v_add_co_u32_e32 v8, vcc, 8, v0
	s_movk_i32 s5, 0x3400
	s_movk_i32 s6, 0x2c00
	;; [unrolled: 1-line block ×3, first 2 shown]
	s_mov_b32 s9, 0x7060302
	v_mov_b32_e32 v13, 0
	v_mov_b32_e32 v14, 0
	;; [unrolled: 1-line block ×10, first 2 shown]
	s_lshl_b64 s[0:1], s[20:21], 2
	v_addc_co_u32_e32 v9, vcc, 0, v1, vcc
	v_mov_b32_e32 v24, 0
	s_waitcnt vmcnt(1)
	v_lshrrev_b32_e32 v0, v2, v10
	v_bfe_u32 v26, v10, v25, 2
	v_bfe_u32 v27, v0, 2, 2
	;; [unrolled: 1-line block ×4, first 2 shown]
	s_branch .LBB35_18
.LBB35_17:                              ;   in Loop: Header=BB35_18 Depth=1
	global_load_dwordx4 v[0:3], v[8:9], off offset:-8
	v_add_u32_e32 v10, v26, v5
	v_add_u32_e32 v11, v27, v5
	;; [unrolled: 1-line block ×4, first 2 shown]
	v_or_b32_e32 v34, 0xffffe400, v10
	v_cvt_f32_i32_e32 v10, v10
	v_or_b32_e32 v35, 0xffffe400, v11
	v_cvt_f32_i32_e32 v32, v11
	;; [unrolled: 2-line block ×4, first 2 shown]
	v_cvt_f16_f32_e32 v10, v10
	v_cvt_f16_f32_e32 v32, v32
	v_cvt_f16_f32_e32 v30, v30
	v_cvt_f16_f32_e32 v31, v31
	v_sub_f16_e32 v36, 0xdc00, v10
	v_sub_f16_e32 v37, 0xd400, v10
	;; [unrolled: 1-line block ×12, first 2 shown]
	s_add_i32 s11, s2, 0x400
	s_add_i32 s24, s24, 16
	v_add_co_u32_e32 v8, vcc, s0, v8
	s_waitcnt vmcnt(0)
	v_and_b32_e32 v30, 0x30003, v0
	v_and_b32_e32 v31, 0xc000c, v0
	v_and_b32_e32 v32, 0x300030, v0
	v_and_b32_e32 v33, 0xc000c0, v0
	v_lshrrev_b32_e32 v0, 8, v0
	v_and_b32_e32 v38, 0x30003, v1
	v_and_b32_e32 v39, 0xc000c, v1
	;; [unrolled: 1-line block ×4, first 2 shown]
	v_lshrrev_b32_e32 v1, 8, v1
	v_and_b32_e32 v42, 0x30003, v2
	v_and_b32_e32 v45, 0x30003, v0
	;; [unrolled: 1-line block ×9, first 2 shown]
	v_or_b32_e32 v32, 0x64006400, v32
	v_or_b32_e32 v65, 0x64006400, v42
	;; [unrolled: 1-line block ×6, first 2 shown]
	v_and_b32_e32 v49, 0x300030, v2
	v_or_b32_e32 v30, 0x64006400, v30
	v_or_b32_e32 v31, 0x64006400, v31
	;; [unrolled: 1-line block ×6, first 2 shown]
	v_pk_fma_f16 v40, v32, s6, v37 op_sel_hi:[1,0,0]
	v_or_b32_e32 v55, 0x64006400, v62
	v_or_b32_e32 v62, 0x64006400, v63
	v_pk_add_f16 v44, v34, v42 op_sel_hi:[0,1]
	v_pk_fma_f16 v42, v54, s6, v37 op_sel_hi:[1,0,0]
	v_pk_fma_f16 v37, v1, s8, v48 op_sel_hi:[1,0,0]
	v_and_b32_e32 v1, 0xc000c0, v2
	v_lshrrev_b32_e32 v2, 8, v2
	v_pk_add_f16 v38, v34, v30 op_sel_hi:[0,1]
	v_pk_fma_f16 v39, v31, s5, v36 op_sel_hi:[1,0,0]
	v_pk_add_f16 v30, v35, v56 op_sel_hi:[0,1]
	v_pk_fma_f16 v31, v57, s5, v46 op_sel_hi:[1,0,0]
	v_pk_add_f16 v34, v35, v55 op_sel_hi:[0,1]
	v_pk_fma_f16 v35, v62, s5, v46 op_sel_hi:[1,0,0]
	v_and_b32_e32 v46, 0x30003, v2
	v_and_b32_e32 v0, 0xc000c0, v0
	v_or_b32_e32 v54, 0x64006400, v46
	v_and_b32_e32 v46, 0xc000c, v2
	v_or_b32_e32 v33, 0x64006400, v33
	v_or_b32_e32 v0, 0x64006400, v0
	;; [unrolled: 1-line block ×3, first 2 shown]
	v_and_b32_e32 v46, 0x300030, v2
	v_and_b32_e32 v2, 0xc000c0, v2
	v_or_b32_e32 v61, 0x64006400, v41
	v_pk_fma_f16 v41, v33, s8, v43 op_sel_hi:[1,0,0]
	v_pk_fma_f16 v43, v0, s8, v43 op_sel_hi:[1,0,0]
	v_or_b32_e32 v0, 0x64006400, v49
	v_or_b32_e32 v1, 0x64006400, v1
	v_or_b32_e32 v2, 0x64006400, v2
	v_pk_fma_f16 v33, v61, s8, v48 op_sel_hi:[1,0,0]
	v_or_b32_e32 v56, 0x64006400, v46
	v_pk_add_f16 v46, v50, v65 op_sel_hi:[0,1]
	v_pk_fma_f16 v48, v0, s6, v52 op_sel_hi:[1,0,0]
	v_pk_fma_f16 v49, v1, s8, v53 op_sel_hi:[1,0,0]
	v_pk_add_f16 v50, v50, v54 op_sel_hi:[0,1]
	v_pk_fma_f16 v53, v2, s8, v53 op_sel_hi:[1,0,0]
	v_and_b32_e32 v0, 0x30003, v3
	v_and_b32_e32 v1, 0xc000c, v3
	;; [unrolled: 1-line block ×4, first 2 shown]
	v_lshrrev_b32_e32 v3, 8, v3
	v_or_b32_e32 v57, 0x64006400, v54
	v_and_b32_e32 v54, 0x30003, v3
	v_pk_fma_f16 v32, v58, s6, v47 op_sel_hi:[1,0,0]
	v_or_b32_e32 v58, 0x64006400, v54
	v_and_b32_e32 v54, 0xc000c, v3
	v_or_b32_e32 v61, 0x64006400, v54
	v_and_b32_e32 v54, 0x300030, v3
	v_or_b32_e32 v2, 0x64006400, v2
	v_or_b32_e32 v62, 0x64006400, v54
	v_pk_fma_f16 v52, v56, s6, v52 op_sel_hi:[1,0,0]
	v_pk_fma_f16 v56, v2, s6, v60 op_sel_hi:[1,0,0]
	;; [unrolled: 1-line block ×3, first 2 shown]
	v_mov_b32_e32 v62, s2
	v_or_b32_e32 v63, 0x64006400, v64
	ds_read2_b32 v[64:65], v62 offset1:1
	v_and_b32_e32 v3, 0xc000c0, v3
	v_or_b32_e32 v0, 0x64006400, v0
	v_or_b32_e32 v1, 0x64006400, v1
	v_or_b32_e32 v3, 0x64006400, v3
	v_pk_fma_f16 v45, v45, s5, v36 op_sel_hi:[1,0,0]
	v_pk_fma_f16 v36, v63, s6, v47 op_sel_hi:[1,0,0]
	;; [unrolled: 1-line block ×4, first 2 shown]
	v_pk_add_f16 v54, v11, v0 op_sel_hi:[0,1]
	v_pk_fma_f16 v55, v1, s5, v59 op_sel_hi:[1,0,0]
	v_pk_fma_f16 v57, v57, s8, v10 op_sel_hi:[1,0,0]
	v_pk_add_f16 v58, v11, v58 op_sel_hi:[0,1]
	v_pk_fma_f16 v59, v61, s5, v59 op_sel_hi:[1,0,0]
	v_pk_fma_f16 v61, v3, s8, v10 op_sel_hi:[1,0,0]
	ds_read2_b32 v[10:11], v62 offset0:2 offset1:3
	ds_read2_b32 v[2:3], v62 offset0:4 offset1:5
	ds_read2_b32 v[0:1], v62 offset0:6 offset1:7
	s_waitcnt lgkmcnt(3)
	v_pk_fma_f16 v63, v38, v64, 0
	v_pk_fma_f16 v66, v30, v64, 0
	v_pk_fma_f16 v63, v39, v65, v63
	v_pk_fma_f16 v66, v31, v65, v66
	s_waitcnt lgkmcnt(2)
	v_pk_fma_f16 v63, v40, v10, v63
	v_pk_fma_f16 v66, v32, v10, v66
	v_pk_fma_f16 v63, v41, v11, v63
	v_pk_fma_f16 v66, v33, v11, v66
	s_waitcnt lgkmcnt(1)
	v_pk_fma_f16 v63, v44, v2, v63
	v_pk_fma_f16 v66, v34, v2, v66
	v_pk_fma_f16 v63, v45, v3, v63
	v_pk_fma_f16 v66, v35, v3, v66
	s_waitcnt lgkmcnt(0)
	v_pk_fma_f16 v63, v42, v0, v63
	v_pk_fma_f16 v66, v36, v0, v66
	v_pk_fma_f16 v63, v43, v1, v63
	v_pk_fma_f16 v66, v37, v1, v66
	v_pack_b32_f16 v67, v63, v66
	v_perm_b32 v63, v66, v63, s9
	v_pk_add_f16 v63, v67, v63
	v_pk_fma_f16 v24, v63, v6, v24
	v_pk_fma_f16 v63, v46, v64, 0
	v_pk_fma_f16 v64, v54, v64, 0
	v_pk_fma_f16 v63, v47, v65, v63
	v_pk_fma_f16 v64, v55, v65, v64
	v_pk_fma_f16 v63, v48, v10, v63
	v_pk_fma_f16 v10, v56, v10, v64
	v_pk_fma_f16 v63, v49, v11, v63
	v_pk_fma_f16 v10, v57, v11, v10
	v_pk_fma_f16 v63, v50, v2, v63
	v_pk_fma_f16 v2, v58, v2, v10
	v_pk_fma_f16 v63, v51, v3, v63
	v_pk_fma_f16 v2, v59, v3, v2
	v_pk_fma_f16 v63, v52, v0, v63
	v_pk_fma_f16 v0, v60, v0, v2
	v_pk_fma_f16 v63, v53, v1, v63
	v_pk_fma_f16 v0, v61, v1, v0
	v_pack_b32_f16 v1, v63, v0
	v_perm_b32 v0, v0, v63, s9
	v_pk_add_f16 v2, v1, v0
	ds_read2_b32 v[0:1], v62 offset0:64 offset1:65
	v_pk_fma_f16 v23, v2, v7, v23
	ds_read2_b32 v[2:3], v62 offset0:66 offset1:67
	ds_read2_b32 v[10:11], v62 offset0:68 offset1:69
	ds_read2_b32 v[64:65], v62 offset0:70 offset1:71
	s_waitcnt lgkmcnt(3)
	v_pk_fma_f16 v63, v38, v0, 0
	v_pk_fma_f16 v66, v30, v0, 0
	v_pk_fma_f16 v63, v39, v1, v63
	v_pk_fma_f16 v66, v31, v1, v66
	s_waitcnt lgkmcnt(2)
	v_pk_fma_f16 v63, v40, v2, v63
	v_pk_fma_f16 v66, v32, v2, v66
	v_pk_fma_f16 v63, v41, v3, v63
	v_pk_fma_f16 v66, v33, v3, v66
	s_waitcnt lgkmcnt(1)
	v_pk_fma_f16 v63, v44, v10, v63
	v_pk_fma_f16 v66, v34, v10, v66
	v_pk_fma_f16 v63, v45, v11, v63
	v_pk_fma_f16 v66, v35, v11, v66
	s_waitcnt lgkmcnt(0)
	v_pk_fma_f16 v63, v42, v64, v63
	v_pk_fma_f16 v66, v36, v64, v66
	v_pk_fma_f16 v63, v43, v65, v63
	v_pk_fma_f16 v66, v37, v65, v66
	v_pack_b32_f16 v67, v63, v66
	v_perm_b32 v63, v66, v63, s9
	v_pk_add_f16 v63, v67, v63
	v_pk_fma_f16 v21, v63, v6, v21
	v_pk_fma_f16 v63, v46, v0, 0
	v_pk_fma_f16 v0, v54, v0, 0
	v_pk_fma_f16 v63, v47, v1, v63
	v_pk_fma_f16 v0, v55, v1, v0
	v_pk_fma_f16 v63, v48, v2, v63
	v_pk_fma_f16 v0, v56, v2, v0
	v_pk_fma_f16 v63, v49, v3, v63
	v_pk_fma_f16 v0, v57, v3, v0
	v_pk_fma_f16 v63, v50, v10, v63
	v_pk_fma_f16 v0, v58, v10, v0
	v_pk_fma_f16 v63, v51, v11, v63
	v_pk_fma_f16 v0, v59, v11, v0
	v_pk_fma_f16 v63, v52, v64, v63
	v_pk_fma_f16 v0, v60, v64, v0
	v_pk_fma_f16 v63, v53, v65, v63
	v_pk_fma_f16 v0, v61, v65, v0
	v_pack_b32_f16 v1, v63, v0
	v_perm_b32 v0, v0, v63, s9
	v_pk_add_f16 v2, v1, v0
	ds_read2_b32 v[0:1], v62 offset0:128 offset1:129
	v_pk_fma_f16 v20, v2, v7, v20
	;; [unrolled: 48-line block ×3, first 2 shown]
	ds_read2_b32 v[2:3], v62 offset0:194 offset1:195
	ds_read2_b32 v[10:11], v62 offset0:196 offset1:197
	;; [unrolled: 1-line block ×3, first 2 shown]
	s_waitcnt lgkmcnt(3)
	v_pk_fma_f16 v64, v38, v0, 0
	v_pk_fma_f16 v65, v30, v0, 0
	v_pk_fma_f16 v64, v39, v1, v64
	v_pk_fma_f16 v65, v31, v1, v65
	s_waitcnt lgkmcnt(2)
	v_pk_fma_f16 v64, v40, v2, v64
	v_pk_fma_f16 v65, v32, v2, v65
	v_pk_fma_f16 v64, v41, v3, v64
	v_pk_fma_f16 v65, v33, v3, v65
	s_waitcnt lgkmcnt(1)
	v_pk_fma_f16 v64, v44, v10, v64
	v_pk_fma_f16 v65, v34, v10, v65
	v_pk_fma_f16 v64, v45, v11, v64
	v_pk_fma_f16 v65, v35, v11, v65
	s_waitcnt lgkmcnt(0)
	v_pk_fma_f16 v64, v42, v62, v64
	v_pk_fma_f16 v65, v36, v62, v65
	v_pk_fma_f16 v64, v43, v63, v64
	v_pk_fma_f16 v65, v37, v63, v65
	v_pack_b32_f16 v66, v64, v65
	v_perm_b32 v64, v65, v64, s9
	v_pk_add_f16 v64, v66, v64
	v_pk_fma_f16 v17, v64, v6, v17
	v_pk_fma_f16 v64, v46, v0, 0
	;; [unrolled: 1-line block ×17, first 2 shown]
	v_pack_b32_f16 v1, v64, v0
	v_perm_b32 v0, v0, v64, s9
	v_pk_add_f16 v0, v1, v0
	v_pk_fma_f16 v16, v0, v7, v16
	v_mov_b32_e32 v0, s11
	s_add_i32 s11, s2, 0x408
	ds_read2_b32 v[10:11], v0 offset1:1
	v_mov_b32_e32 v1, s11
	s_add_i32 s11, s2, 0x410
	v_mov_b32_e32 v2, s11
	s_add_i32 s11, s2, 0x418
	v_mov_b32_e32 v0, s11
	ds_read2_b32 v[62:63], v1 offset1:1
	ds_read2_b32 v[2:3], v2 offset1:1
	;; [unrolled: 1-line block ×3, first 2 shown]
	s_waitcnt lgkmcnt(3)
	v_pk_fma_f16 v64, v38, v10, 0
	v_pk_fma_f16 v65, v30, v10, 0
	v_pk_fma_f16 v64, v39, v11, v64
	v_pk_fma_f16 v65, v31, v11, v65
	s_waitcnt lgkmcnt(2)
	v_pk_fma_f16 v64, v40, v62, v64
	v_pk_fma_f16 v65, v32, v62, v65
	v_pk_fma_f16 v64, v41, v63, v64
	v_pk_fma_f16 v65, v33, v63, v65
	;; [unrolled: 5-line block ×4, first 2 shown]
	v_pack_b32_f16 v66, v64, v65
	v_perm_b32 v64, v65, v64, s9
	v_pk_add_f16 v64, v66, v64
	v_pk_fma_f16 v15, v64, v6, v15
	v_pk_fma_f16 v64, v46, v10, 0
	;; [unrolled: 1-line block ×17, first 2 shown]
	v_pack_b32_f16 v1, v64, v0
	v_perm_b32 v0, v0, v64, s9
	v_pk_add_f16 v0, v1, v0
	s_add_i32 s11, s2, 0x500
	v_pk_fma_f16 v14, v0, v7, v14
	v_mov_b32_e32 v0, s11
	s_add_i32 s11, s2, 0x508
	ds_read2_b32 v[0:1], v0 offset1:1
	v_mov_b32_e32 v2, s11
	s_add_i32 s11, s2, 0x510
	v_mov_b32_e32 v10, s11
	s_add_i32 s11, s2, 0x518
	v_mov_b32_e32 v62, s11
	ds_read2_b32 v[2:3], v2 offset1:1
	ds_read2_b32 v[10:11], v10 offset1:1
	;; [unrolled: 1-line block ×3, first 2 shown]
	s_waitcnt lgkmcnt(3)
	v_pk_fma_f16 v38, v38, v0, 0
	v_pk_fma_f16 v30, v30, v0, 0
	v_pk_fma_f16 v38, v39, v1, v38
	v_pk_fma_f16 v30, v31, v1, v30
	s_waitcnt lgkmcnt(2)
	v_pk_fma_f16 v38, v40, v2, v38
	v_pk_fma_f16 v30, v32, v2, v30
	v_pk_fma_f16 v38, v41, v3, v38
	v_pk_fma_f16 v30, v33, v3, v30
	;; [unrolled: 5-line block ×4, first 2 shown]
	v_pack_b32_f16 v31, v38, v30
	v_perm_b32 v30, v30, v38, s9
	v_pk_add_f16 v30, v31, v30
	v_pk_fma_f16 v13, v30, v6, v13
	v_pk_fma_f16 v30, v46, v0, 0
	;; [unrolled: 1-line block ×17, first 2 shown]
	v_pack_b32_f16 v1, v30, v0
	v_perm_b32 v0, v0, v30, s9
	v_pk_add_f16 v0, v1, v0
	v_pk_fma_f16 v12, v0, v7, v12
	v_mov_b32_e32 v0, s1
	s_add_i32 s2, s2, 32
	s_cmp_ge_i32 s24, s25
	v_addc_co_u32_e32 v9, vcc, v9, v0, vcc
	s_cbranch_scc1 .LBB35_20
.LBB35_18:                              ; =>This Inner Loop Header: Depth=1
	s_cmp_lg_u32 s24, s10
	s_cbranch_scc1 .LBB35_17
; %bb.19:                               ;   in Loop: Header=BB35_18 Depth=1
	s_add_i32 s4, s4, 1
	s_mul_i32 s11, s4, s20
	s_ashr_i32 s12, s11, 31
	s_lshr_b32 s12, s12, 28
	s_add_i32 s12, s11, s12
	s_ashr_i32 s12, s12, 4
	v_add_u32_e32 v0, s12, v22
	v_ashrrev_i32_e32 v1, 31, v0
	v_lshlrev_b64 v[0:1], 2, v[0:1]
	v_mov_b32_e32 v2, s15
	v_add_co_u32_e32 v0, vcc, s14, v0
	v_addc_co_u32_e32 v1, vcc, v2, v1, vcc
	global_load_dword v2, v[0:1], off
	v_add_u32_e32 v0, s11, v4
	v_ashrrev_i32_e32 v1, 31, v0
	v_lshlrev_b64 v[0:1], 1, v[0:1]
	v_mov_b32_e32 v3, s17
	v_add_co_u32_e32 v0, vcc, s16, v0
	v_addc_co_u32_e32 v1, vcc, v3, v1, vcc
	global_load_dwordx2 v[6:7], v[0:1], off
	s_add_i32 s10, s10, s3
	s_waitcnt vmcnt(1)
	v_lshrrev_b32_e32 v0, v25, v2
	v_bfe_u32 v26, v2, v25, 2
	v_bfe_u32 v27, v0, 2, 2
	v_bfe_u32 v28, v0, 4, 2
	v_bfe_u32 v29, v0, 6, 2
	s_branch .LBB35_17
.LBB35_20:
	s_mul_i32 s7, s7, s20
	v_add_u32_e32 v0, s7, v4
	v_ashrrev_i32_e32 v1, 31, v0
	v_lshlrev_b64 v[2:3], 1, v[0:1]
	v_mov_b32_e32 v1, s19
	v_add_co_u32_e32 v2, vcc, s18, v2
	v_addc_co_u32_e32 v3, vcc, v1, v3, vcc
	global_load_dword v5, v[2:3], off
	s_mov_b64 s[0:1], 0
.LBB35_21:                              ; =>This Inner Loop Header: Depth=1
	s_waitcnt vmcnt(0)
	v_pk_add_f16 v4, v24, v5
	global_atomic_cmpswap v1, v[2:3], v[4:5], off glc
	s_waitcnt vmcnt(0)
	v_cmp_eq_u32_e32 vcc, v5, v1
	s_or_b64 s[0:1], vcc, s[0:1]
	v_mov_b32_e32 v5, v1
	s_andn2_b64 exec, exec, s[0:1]
	s_cbranch_execnz .LBB35_21
; %bb.22:
	s_or_b64 exec, exec, s[0:1]
	global_load_dword v5, v[2:3], off offset:4
	s_mov_b64 s[0:1], 0
.LBB35_23:                              ; =>This Inner Loop Header: Depth=1
	s_waitcnt vmcnt(0)
	v_pk_add_f16 v4, v23, v5
	global_atomic_cmpswap v1, v[2:3], v[4:5], off offset:4 glc
	s_waitcnt vmcnt(0)
	v_cmp_eq_u32_e32 vcc, v5, v1
	s_or_b64 s[0:1], vcc, s[0:1]
	v_mov_b32_e32 v5, v1
	s_andn2_b64 exec, exec, s[0:1]
	s_cbranch_execnz .LBB35_23
; %bb.24:
	s_or_b64 exec, exec, s[0:1]
	v_add_u32_e32 v0, s20, v0
	v_ashrrev_i32_e32 v1, 31, v0
	v_lshlrev_b64 v[2:3], 1, v[0:1]
	v_mov_b32_e32 v1, s19
	v_add_co_u32_e32 v2, vcc, s18, v2
	v_addc_co_u32_e32 v3, vcc, v1, v3, vcc
	global_load_dword v5, v[2:3], off
	s_mov_b64 s[0:1], 0
.LBB35_25:                              ; =>This Inner Loop Header: Depth=1
	s_waitcnt vmcnt(0)
	v_pk_add_f16 v4, v21, v5
	global_atomic_cmpswap v1, v[2:3], v[4:5], off glc
	s_waitcnt vmcnt(0)
	v_cmp_eq_u32_e32 vcc, v5, v1
	s_or_b64 s[0:1], vcc, s[0:1]
	v_mov_b32_e32 v5, v1
	s_andn2_b64 exec, exec, s[0:1]
	s_cbranch_execnz .LBB35_25
; %bb.26:
	s_or_b64 exec, exec, s[0:1]
	global_load_dword v5, v[2:3], off offset:4
	s_mov_b64 s[0:1], 0
.LBB35_27:                              ; =>This Inner Loop Header: Depth=1
	s_waitcnt vmcnt(0)
	v_pk_add_f16 v4, v20, v5
	global_atomic_cmpswap v1, v[2:3], v[4:5], off offset:4 glc
	s_waitcnt vmcnt(0)
	v_cmp_eq_u32_e32 vcc, v5, v1
	s_or_b64 s[0:1], vcc, s[0:1]
	v_mov_b32_e32 v5, v1
	s_andn2_b64 exec, exec, s[0:1]
	s_cbranch_execnz .LBB35_27
; %bb.28:
	s_or_b64 exec, exec, s[0:1]
	;; [unrolled: 34-line block ×5, first 2 shown]
	v_add_u32_e32 v0, s20, v0
	v_ashrrev_i32_e32 v1, 31, v0
	v_lshlrev_b64 v[0:1], 1, v[0:1]
	v_mov_b32_e32 v2, s19
	v_add_co_u32_e32 v0, vcc, s18, v0
	v_addc_co_u32_e32 v1, vcc, v2, v1, vcc
	global_load_dword v3, v[0:1], off
	s_mov_b64 s[0:1], 0
.LBB35_41:                              ; =>This Inner Loop Header: Depth=1
	s_waitcnt vmcnt(0)
	v_pk_add_f16 v2, v13, v3
	global_atomic_cmpswap v2, v[0:1], v[2:3], off glc
	s_waitcnt vmcnt(0)
	v_cmp_eq_u32_e32 vcc, v3, v2
	s_or_b64 s[0:1], vcc, s[0:1]
	v_mov_b32_e32 v3, v2
	s_andn2_b64 exec, exec, s[0:1]
	s_cbranch_execnz .LBB35_41
; %bb.42:
	s_or_b64 exec, exec, s[0:1]
	global_load_dword v3, v[0:1], off offset:4
	s_mov_b64 s[0:1], 0
.LBB35_43:                              ; =>This Inner Loop Header: Depth=1
	s_waitcnt vmcnt(0)
	v_pk_add_f16 v2, v12, v3
	global_atomic_cmpswap v2, v[0:1], v[2:3], off offset:4 glc
	s_waitcnt vmcnt(0)
	v_cmp_eq_u32_e32 vcc, v3, v2
	s_or_b64 s[0:1], vcc, s[0:1]
	v_mov_b32_e32 v3, v2
	s_andn2_b64 exec, exec, s[0:1]
	s_cbranch_execnz .LBB35_43
.LBB35_44:
	s_endpgm
	.section	.rodata,"a",@progbits
	.p2align	6, 0x0
	.amdhsa_kernel _ZN4vllm4gptq33gemm_half_q_half_gptq_2bit_kernelILb1ELi6EEEvPK6__halfPKjS6_S4_PS2_iiiibPKi
		.amdhsa_group_segment_fixed_size 1536
		.amdhsa_private_segment_fixed_size 0
		.amdhsa_kernarg_size 72
		.amdhsa_user_sgpr_count 6
		.amdhsa_user_sgpr_private_segment_buffer 1
		.amdhsa_user_sgpr_dispatch_ptr 0
		.amdhsa_user_sgpr_queue_ptr 0
		.amdhsa_user_sgpr_kernarg_segment_ptr 1
		.amdhsa_user_sgpr_dispatch_id 0
		.amdhsa_user_sgpr_flat_scratch_init 0
		.amdhsa_user_sgpr_kernarg_preload_length 0
		.amdhsa_user_sgpr_kernarg_preload_offset 0
		.amdhsa_user_sgpr_private_segment_size 0
		.amdhsa_uses_dynamic_stack 0
		.amdhsa_system_sgpr_private_segment_wavefront_offset 0
		.amdhsa_system_sgpr_workgroup_id_x 1
		.amdhsa_system_sgpr_workgroup_id_y 1
		.amdhsa_system_sgpr_workgroup_id_z 1
		.amdhsa_system_sgpr_workgroup_info 0
		.amdhsa_system_vgpr_workitem_id 0
		.amdhsa_next_free_vgpr 68
		.amdhsa_next_free_sgpr 26
		.amdhsa_accum_offset 68
		.amdhsa_reserve_vcc 1
		.amdhsa_reserve_flat_scratch 0
		.amdhsa_float_round_mode_32 0
		.amdhsa_float_round_mode_16_64 0
		.amdhsa_float_denorm_mode_32 3
		.amdhsa_float_denorm_mode_16_64 3
		.amdhsa_dx10_clamp 1
		.amdhsa_ieee_mode 1
		.amdhsa_fp16_overflow 0
		.amdhsa_tg_split 0
		.amdhsa_exception_fp_ieee_invalid_op 0
		.amdhsa_exception_fp_denorm_src 0
		.amdhsa_exception_fp_ieee_div_zero 0
		.amdhsa_exception_fp_ieee_overflow 0
		.amdhsa_exception_fp_ieee_underflow 0
		.amdhsa_exception_fp_ieee_inexact 0
		.amdhsa_exception_int_div_zero 0
	.end_amdhsa_kernel
	.section	.text._ZN4vllm4gptq33gemm_half_q_half_gptq_2bit_kernelILb1ELi6EEEvPK6__halfPKjS6_S4_PS2_iiiibPKi,"axG",@progbits,_ZN4vllm4gptq33gemm_half_q_half_gptq_2bit_kernelILb1ELi6EEEvPK6__halfPKjS6_S4_PS2_iiiibPKi,comdat
.Lfunc_end35:
	.size	_ZN4vllm4gptq33gemm_half_q_half_gptq_2bit_kernelILb1ELi6EEEvPK6__halfPKjS6_S4_PS2_iiiibPKi, .Lfunc_end35-_ZN4vllm4gptq33gemm_half_q_half_gptq_2bit_kernelILb1ELi6EEEvPK6__halfPKjS6_S4_PS2_iiiibPKi
                                        ; -- End function
	.section	.AMDGPU.csdata,"",@progbits
; Kernel info:
; codeLenInByte = 5648
; NumSgprs: 30
; NumVgprs: 68
; NumAgprs: 0
; TotalNumVgprs: 68
; ScratchSize: 0
; MemoryBound: 0
; FloatMode: 240
; IeeeMode: 1
; LDSByteSize: 1536 bytes/workgroup (compile time only)
; SGPRBlocks: 3
; VGPRBlocks: 8
; NumSGPRsForWavesPerEU: 30
; NumVGPRsForWavesPerEU: 68
; AccumOffset: 68
; Occupancy: 7
; WaveLimiterHint : 0
; COMPUTE_PGM_RSRC2:SCRATCH_EN: 0
; COMPUTE_PGM_RSRC2:USER_SGPR: 6
; COMPUTE_PGM_RSRC2:TRAP_HANDLER: 0
; COMPUTE_PGM_RSRC2:TGID_X_EN: 1
; COMPUTE_PGM_RSRC2:TGID_Y_EN: 1
; COMPUTE_PGM_RSRC2:TGID_Z_EN: 1
; COMPUTE_PGM_RSRC2:TIDIG_COMP_CNT: 0
; COMPUTE_PGM_RSRC3_GFX90A:ACCUM_OFFSET: 16
; COMPUTE_PGM_RSRC3_GFX90A:TG_SPLIT: 0
	.section	.text._ZN4vllm4gptq33gemm_half_q_half_gptq_3bit_kernelILb1ELi6EEEvPK6__halfPKjS6_S4_PS2_iiiibPKi,"axG",@progbits,_ZN4vllm4gptq33gemm_half_q_half_gptq_3bit_kernelILb1ELi6EEEvPK6__halfPKjS6_S4_PS2_iiiibPKi,comdat
	.protected	_ZN4vllm4gptq33gemm_half_q_half_gptq_3bit_kernelILb1ELi6EEEvPK6__halfPKjS6_S4_PS2_iiiibPKi ; -- Begin function _ZN4vllm4gptq33gemm_half_q_half_gptq_3bit_kernelILb1ELi6EEEvPK6__halfPKjS6_S4_PS2_iiiibPKi
	.globl	_ZN4vllm4gptq33gemm_half_q_half_gptq_3bit_kernelILb1ELi6EEEvPK6__halfPKjS6_S4_PS2_iiiibPKi
	.p2align	8
	.type	_ZN4vllm4gptq33gemm_half_q_half_gptq_3bit_kernelILb1ELi6EEEvPK6__halfPKjS6_S4_PS2_iiiibPKi,@function
_ZN4vllm4gptq33gemm_half_q_half_gptq_3bit_kernelILb1ELi6EEEvPK6__halfPKjS6_S4_PS2_iiiibPKi: ; @_ZN4vllm4gptq33gemm_half_q_half_gptq_3bit_kernelILb1ELi6EEEvPK6__halfPKjS6_S4_PS2_iiiibPKi
; %bb.0:
	s_load_dwordx8 s[12:19], s[4:5], 0x8
	s_load_dwordx4 s[20:23], s[4:5], 0x2c
	s_lshl_b32 s25, s8, 7
	s_add_i32 s0, s25, 0x80
	v_cvt_f64_u32_e32 v[2:3], s0
	s_mul_i32 s24, s7, 6
	s_waitcnt lgkmcnt(0)
	v_cvt_f64_i32_e32 v[4:5], s21
	v_min_f64 v[2:3], v[2:3], v[4:5]
	v_cvt_i32_f64_e32 v1, v[2:3]
	v_add_u32_e32 v2, s25, v0
	v_readfirstlane_b32 s26, v1
	v_cmp_lt_u32_e32 vcc, v2, v1
	s_and_saveexec_b64 s[2:3], vcc
	s_cbranch_execz .LBB36_14
; %bb.1:
	s_load_dwordx2 s[0:1], s[4:5], 0x40
	s_load_dwordx2 s[8:9], s[4:5], 0x0
	v_mov_b32_e32 v3, 0
	v_lshlrev_b64 v[4:5], 2, v[2:3]
	v_pk_mov_b32 v[6:7], v[2:3], v[2:3] op_sel:[0,1]
	s_waitcnt lgkmcnt(0)
	s_cmp_lg_u64 s[0:1], 0
	v_mov_b32_e32 v1, s1
	v_add_co_u32_e32 v4, vcc, s0, v4
	s_cselect_b64 s[4:5], -1, 0
	s_cmp_eq_u64 s[0:1], 0
	v_addc_co_u32_e32 v5, vcc, v1, v5, vcc
	s_cbranch_scc1 .LBB36_3
; %bb.2:
	global_load_dword v6, v[4:5], off
	s_waitcnt vmcnt(0)
	v_ashrrev_i32_e32 v7, 31, v6
.LBB36_3:
	s_mul_i32 s10, s24, s21
	s_ashr_i32 s11, s10, 31
	s_lshl_b64 s[0:1], s[10:11], 1
	s_add_u32 s0, s8, s0
	s_addc_u32 s1, s9, s1
	v_lshlrev_b64 v[6:7], 1, v[6:7]
	v_mov_b32_e32 v1, s1
	v_add_co_u32_e32 v6, vcc, s0, v6
	v_addc_co_u32_e32 v7, vcc, v1, v7, vcc
	global_load_ushort v6, v[6:7], off
	v_lshlrev_b32_e32 v1, 1, v0
	v_cndmask_b32_e64 v7, 0, 1, s[4:5]
	v_cmp_ne_u32_e64 s[0:1], 1, v7
	s_andn2_b64 vcc, exec, s[4:5]
	s_waitcnt vmcnt(0)
	ds_write_b16 v1, v6
	v_pk_mov_b32 v[6:7], v[2:3], v[2:3] op_sel:[0,1]
	s_cbranch_vccnz .LBB36_5
; %bb.4:
	global_load_dword v6, v[4:5], off
	s_waitcnt vmcnt(0)
	v_ashrrev_i32_e32 v7, 31, v6
.LBB36_5:
	s_add_i32 s4, s10, s21
	s_ashr_i32 s5, s4, 31
	s_lshl_b64 s[10:11], s[4:5], 1
	s_add_u32 s5, s8, s10
	s_addc_u32 s7, s9, s11
	v_lshlrev_b64 v[6:7], 1, v[6:7]
	v_mov_b32_e32 v8, s7
	v_add_co_u32_e32 v6, vcc, s5, v6
	v_addc_co_u32_e32 v7, vcc, v8, v7, vcc
	global_load_ushort v6, v[6:7], off
	s_and_b64 vcc, exec, s[0:1]
	s_waitcnt vmcnt(0)
	ds_write_b16 v1, v6 offset:256
	v_pk_mov_b32 v[6:7], v[2:3], v[2:3] op_sel:[0,1]
	s_cbranch_vccnz .LBB36_7
; %bb.6:
	global_load_dword v6, v[4:5], off
	s_waitcnt vmcnt(0)
	v_ashrrev_i32_e32 v7, 31, v6
.LBB36_7:
	s_add_i32 s4, s4, s21
	s_ashr_i32 s5, s4, 31
	s_lshl_b64 s[10:11], s[4:5], 1
	s_add_u32 s5, s8, s10
	s_addc_u32 s7, s9, s11
	v_lshlrev_b64 v[6:7], 1, v[6:7]
	v_mov_b32_e32 v8, s7
	v_add_co_u32_e32 v6, vcc, s5, v6
	v_addc_co_u32_e32 v7, vcc, v8, v7, vcc
	global_load_ushort v6, v[6:7], off
	s_and_b64 vcc, exec, s[0:1]
	s_waitcnt vmcnt(0)
	ds_write_b16 v1, v6 offset:512
	v_pk_mov_b32 v[6:7], v[2:3], v[2:3] op_sel:[0,1]
	s_cbranch_vccnz .LBB36_9
; %bb.8:
	global_load_dword v6, v[4:5], off
	s_waitcnt vmcnt(0)
	v_ashrrev_i32_e32 v7, 31, v6
.LBB36_9:
	s_add_i32 s4, s4, s21
	s_ashr_i32 s5, s4, 31
	s_lshl_b64 s[10:11], s[4:5], 1
	s_add_u32 s5, s8, s10
	s_addc_u32 s7, s9, s11
	v_lshlrev_b64 v[6:7], 1, v[6:7]
	v_mov_b32_e32 v8, s7
	v_add_co_u32_e32 v6, vcc, s5, v6
	v_addc_co_u32_e32 v7, vcc, v8, v7, vcc
	global_load_ushort v6, v[6:7], off
	s_and_b64 vcc, exec, s[0:1]
	s_waitcnt vmcnt(0)
	ds_write_b16 v1, v6 offset:768
	v_pk_mov_b32 v[6:7], v[2:3], v[2:3] op_sel:[0,1]
	s_cbranch_vccnz .LBB36_11
; %bb.10:
	global_load_dword v6, v[4:5], off
	s_waitcnt vmcnt(0)
	v_ashrrev_i32_e32 v7, 31, v6
.LBB36_11:
	s_add_i32 s4, s4, s21
	s_ashr_i32 s5, s4, 31
	s_lshl_b64 s[10:11], s[4:5], 1
	s_add_u32 s5, s8, s10
	s_addc_u32 s7, s9, s11
	v_lshlrev_b64 v[6:7], 1, v[6:7]
	v_mov_b32_e32 v8, s7
	v_add_co_u32_e32 v6, vcc, s5, v6
	v_addc_co_u32_e32 v7, vcc, v8, v7, vcc
	global_load_ushort v6, v[6:7], off
	s_and_b64 vcc, exec, s[0:1]
	s_waitcnt vmcnt(0)
	ds_write_b16 v1, v6 offset:1024
	s_cbranch_vccnz .LBB36_13
; %bb.12:
	global_load_dword v2, v[4:5], off
	s_waitcnt vmcnt(0)
	v_ashrrev_i32_e32 v3, 31, v2
.LBB36_13:
	s_add_i32 s0, s4, s21
	s_ashr_i32 s1, s0, 31
	s_lshl_b64 s[0:1], s[0:1], 1
	s_add_u32 s0, s8, s0
	s_addc_u32 s1, s9, s1
	v_lshlrev_b64 v[2:3], 1, v[2:3]
	v_mov_b32_e32 v4, s1
	v_add_co_u32_e32 v2, vcc, s0, v2
	v_addc_co_u32_e32 v3, vcc, v4, v3, vcc
	global_load_ushort v2, v[2:3], off
	s_waitcnt vmcnt(0)
	ds_write_b16 v1, v2 offset:1280
.LBB36_14:
	s_or_b64 exec, exec, s[2:3]
	v_lshlrev_b32_e32 v0, 2, v0
	v_lshl_add_u32 v12, s6, 9, v0
	v_cmp_gt_i32_e32 vcc, s20, v12
	s_and_saveexec_b64 s[0:1], vcc
	s_cbranch_execz .LBB36_76
; %bb.15:
	s_abs_i32 s0, s22
	v_cvt_f32_u32_e32 v1, s0
	s_sub_i32 s3, 0, s0
	s_abs_i32 s2, s21
	s_xor_b32 s1, s21, s22
	v_rcp_iflag_f32_e32 v1, v1
	s_ashr_i32 s1, s1, 31
	v_and_b32_e32 v2, 28, v0
	v_cmp_lt_u32_e32 vcc, 4, v2
	v_mul_f32_e32 v1, 0x4f7ffffe, v1
	v_cvt_u32_f32_e32 v1, v1
	s_waitcnt lgkmcnt(0)
	s_barrier
	v_readfirstlane_b32 s4, v1
	s_mul_i32 s3, s3, s4
	s_mul_hi_u32 s3, s4, s3
	s_add_i32 s4, s4, s3
	s_mul_hi_u32 s3, s2, s4
	s_mul_i32 s4, s3, s0
	s_sub_i32 s2, s2, s4
	s_add_i32 s5, s3, 1
	s_sub_i32 s4, s2, s0
	s_cmp_ge_u32 s2, s0
	s_cselect_b32 s3, s5, s3
	s_cselect_b32 s2, s4, s2
	s_add_i32 s4, s3, 1
	s_cmp_ge_u32 s2, s0
	s_cselect_b32 s0, s4, s3
	s_xor_b32 s0, s0, s1
	s_sub_i32 s27, s0, s1
	v_cvt_f32_u32_e32 v1, s27
	s_sub_i32 s0, 0, s27
                                        ; implicit-def: $vgpr3
                                        ; implicit-def: $vgpr4
	v_rcp_iflag_f32_e32 v1, v1
	v_mul_f32_e32 v1, 0x4f7ffffe, v1
	v_cvt_u32_f32_e32 v1, v1
	v_readfirstlane_b32 s1, v1
	s_mul_i32 s0, s0, s1
	s_mul_hi_u32 s0, s1, s0
	s_add_i32 s1, s1, s0
	s_mul_hi_u32 s0, s25, s1
	s_mul_i32 s1, s0, s27
	s_sub_i32 s1, s25, s1
	s_add_i32 s2, s0, 1
	s_sub_i32 s3, s1, s27
	s_cmp_ge_u32 s1, s27
	s_cselect_b32 s0, s2, s0
	s_cselect_b32 s1, s3, s1
	s_add_i32 s2, s0, 1
	s_cmp_ge_u32 s1, s27
	s_cselect_b32 s28, s2, s0
	s_and_saveexec_b64 s[0:1], vcc
	s_xor_b64 s[2:3], exec, s[0:1]
	s_cbranch_execz .LBB36_29
; %bb.16:
	v_cmp_ne_u32_e64 s[0:1], 8, v2
                                        ; implicit-def: $vgpr3
                                        ; implicit-def: $vgpr4
	s_and_saveexec_b64 s[4:5], s[0:1]
	s_xor_b64 s[4:5], exec, s[4:5]
	s_cbranch_execz .LBB36_26
; %bb.17:
	v_cmp_lt_u32_e64 s[0:1], 16, v2
                                        ; implicit-def: $vgpr3
                                        ; implicit-def: $vgpr4
	s_and_saveexec_b64 s[6:7], s[0:1]
	s_xor_b64 s[6:7], exec, s[6:7]
	s_cbranch_execz .LBB36_23
; %bb.18:
	s_mul_i32 s8, s28, s20
	v_lshl_add_u32 v0, v12, 1, v12
	s_ashr_i32 s0, s8, 31
	v_ashrrev_i32_e32 v1, 31, v0
	s_lshr_b32 s0, s0, 27
	v_lshrrev_b32_e32 v1, 27, v1
	s_add_i32 s0, s8, s0
	v_add_u32_e32 v0, v0, v1
	s_ashr_i32 s0, s0, 5
	v_ashrrev_i32_e32 v0, 5, v0
	v_mad_u64_u32 v[0:1], s[0:1], s0, 3, v[0:1]
	v_ashrrev_i32_e32 v1, 31, v0
	v_lshlrev_b64 v[0:1], 2, v[0:1]
	v_mov_b32_e32 v3, s15
	v_add_co_u32_e64 v0, s[0:1], s14, v0
	v_addc_co_u32_e64 v1, s[0:1], v3, v1, s[0:1]
	global_load_dword v5, v[0:1], off
	v_cmp_ne_u32_e64 s[0:1], 20, v2
                                        ; implicit-def: $vgpr3
	s_and_saveexec_b64 s[10:11], s[0:1]
	s_xor_b64 s[0:1], exec, s[10:11]
	s_cbranch_execz .LBB36_20
; %bb.19:
	v_not_b32_e32 v0, 63
	v_mad_u32_u24 v0, v2, 3, v0
	s_waitcnt vmcnt(0)
	v_lshrrev_b32_e32 v3, v0, v5
                                        ; implicit-def: $vgpr0_vgpr1
                                        ; implicit-def: $vgpr5
.LBB36_20:
	s_or_saveexec_b64 s[0:1], s[0:1]
	v_mov_b32_e32 v4, s8
	s_xor_b64 exec, exec, s[0:1]
	s_cbranch_execz .LBB36_22
; %bb.21:
	global_load_dword v0, v[0:1], off offset:4
	v_mov_b32_e32 v4, s8
	s_waitcnt vmcnt(0)
	v_alignbit_b32 v0, v0, v5, 28
	v_and_b32_e32 v3, 0xfff, v0
.LBB36_22:
	s_or_b64 exec, exec, s[0:1]
.LBB36_23:
	s_andn2_saveexec_b64 s[6:7], s[6:7]
	s_cbranch_execz .LBB36_25
; %bb.24:
	s_mul_i32 s8, s28, s20
	v_lshl_add_u32 v0, v12, 1, v12
	s_ashr_i32 s0, s8, 31
	v_ashrrev_i32_e32 v1, 31, v0
	s_lshr_b32 s0, s0, 27
	v_lshrrev_b32_e32 v1, 27, v1
	s_add_i32 s0, s8, s0
	v_add_u32_e32 v0, v0, v1
	s_ashr_i32 s0, s0, 5
	v_ashrrev_i32_e32 v0, 5, v0
	v_mad_u64_u32 v[0:1], s[0:1], s0, 3, v[0:1]
	v_ashrrev_i32_e32 v1, 31, v0
	v_lshlrev_b64 v[0:1], 2, v[0:1]
	v_mov_b32_e32 v3, s15
	v_add_co_u32_e64 v0, s[0:1], s14, v0
	v_addc_co_u32_e64 v1, s[0:1], v3, v1, s[0:1]
	global_load_dword v0, v[0:1], off
	v_not_b32_e32 v1, 31
	v_mad_u32_u24 v1, v2, 3, v1
	v_mov_b32_e32 v4, s8
	s_waitcnt vmcnt(0)
	v_lshrrev_b32_e32 v3, v1, v0
.LBB36_25:
	s_or_b64 exec, exec, s[6:7]
.LBB36_26:
	s_andn2_saveexec_b64 s[4:5], s[4:5]
	s_cbranch_execz .LBB36_28
; %bb.27:
	s_mul_i32 s6, s28, s20
	v_lshl_add_u32 v0, v12, 1, v12
	s_ashr_i32 s0, s6, 31
	v_ashrrev_i32_e32 v1, 31, v0
	s_lshr_b32 s0, s0, 27
	v_lshrrev_b32_e32 v1, 27, v1
	s_add_i32 s0, s6, s0
	v_add_u32_e32 v0, v0, v1
	s_ashr_i32 s0, s0, 5
	v_ashrrev_i32_e32 v0, 5, v0
	v_mad_u64_u32 v[0:1], s[0:1], s0, 3, v[0:1]
	v_ashrrev_i32_e32 v1, 31, v0
	v_lshlrev_b64 v[0:1], 2, v[0:1]
	v_mov_b32_e32 v3, s15
	v_add_co_u32_e64 v0, s[0:1], s14, v0
	v_addc_co_u32_e64 v1, s[0:1], v3, v1, s[0:1]
	global_load_dwordx2 v[0:1], v[0:1], off
	s_mov_b32 s0, 0x2010007
	v_mov_b32_e32 v4, s6
	s_waitcnt vmcnt(0)
	v_perm_b32 v0, v0, v1, s0
	v_and_b32_e32 v3, 0xfff, v0
.LBB36_28:
	s_or_b64 exec, exec, s[4:5]
.LBB36_29:
	s_or_saveexec_b64 s[2:3], s[2:3]
	v_lshl_add_u32 v0, v12, 1, v12
	v_ashrrev_i32_e32 v1, 31, v0
	v_mul_u32_u24_e32 v26, 3, v2
	s_xor_b64 exec, exec, s[2:3]
	s_cbranch_execz .LBB36_31
; %bb.30:
	s_mul_i32 s4, s28, s20
	s_ashr_i32 s0, s4, 31
	s_lshr_b32 s0, s0, 27
	v_lshrrev_b32_e32 v3, 27, v1
	s_add_i32 s0, s4, s0
	v_add_u32_e32 v3, v0, v3
	s_ashr_i32 s0, s0, 5
	v_ashrrev_i32_e32 v4, 5, v3
	s_waitcnt vmcnt(0)
	v_mad_u64_u32 v[4:5], s[0:1], s0, 3, v[4:5]
	v_ashrrev_i32_e32 v5, 31, v4
	v_lshlrev_b64 v[4:5], 2, v[4:5]
	v_mov_b32_e32 v3, s15
	v_add_co_u32_e64 v4, s[0:1], s14, v4
	v_addc_co_u32_e64 v5, s[0:1], v3, v5, s[0:1]
	global_load_dword v3, v[4:5], off
	v_mov_b32_e32 v4, s4
	s_waitcnt vmcnt(0)
	v_lshrrev_b32_e32 v3, v26, v3
.LBB36_31:
	s_or_b64 exec, exec, s[2:3]
	s_cmp_ge_i32 s25, s26
	v_mov_b32_e32 v30, 0
	v_mov_b32_e32 v29, 0
	;; [unrolled: 1-line block ×12, first 2 shown]
	s_cbranch_scc1 .LBB36_52
; %bb.32:
	v_add_u32_e32 v4, v4, v12
	s_waitcnt vmcnt(0)
	v_ashrrev_i32_e32 v5, 31, v4
	v_lshlrev_b64 v[4:5], 1, v[4:5]
	v_mov_b32_e32 v6, s17
	v_add_co_u32_e64 v4, s[0:1], s16, v4
	v_addc_co_u32_e64 v5, s[0:1], v6, v5, s[0:1]
	global_load_dwordx2 v[18:19], v[4:5], off
	s_lshr_b32 s0, s25, 5
	s_mul_i32 s0, s0, s20
	s_mul_i32 s6, s0, 3
	s_add_i32 s29, s27, s25
	s_ashr_i32 s7, s6, 31
	s_bitcmp1_b32 s23, 0
	v_lshrrev_b32_e32 v1, 27, v1
	s_cselect_b64 s[0:1], -1, 0
	v_add_u32_e32 v0, v0, v1
	s_xor_b64 s[0:1], s[0:1], -1
	v_ashrrev_i32_e32 v14, 5, v0
	v_not_b32_e32 v0, 63
	s_ashr_i32 s21, s20, 31
	s_lshl_b64 s[6:7], s[6:7], 2
	v_ashrrev_i32_e32 v13, 31, v12
	v_mad_u32_u24 v32, v2, 3, v0
	v_not_b32_e32 v0, 31
	s_add_u32 s6, s12, s6
	v_mad_u32_u24 v33, v2, 3, v0
	v_lshlrev_b64 v[0:1], 2, v[12:13]
	s_addc_u32 s7, s13, s7
	v_cndmask_b32_e64 v31, 0, 1, s[0:1]
	v_cmp_ne_u32_e64 s[0:1], 8, v2
	v_cmp_lt_u32_e64 s[2:3], 16, v2
	v_cmp_ne_u32_e64 s[4:5], 20, v2
	v_mov_b32_e32 v2, s7
	v_add_co_u32_e64 v16, s[6:7], s6, v0
	v_and_b32_e32 v34, 7, v3
	v_bfe_u32 v35, v3, 3, 3
	v_bfe_u32 v36, v3, 6, 3
	;; [unrolled: 1-line block ×3, first 2 shown]
	v_addc_co_u32_e64 v17, s[6:7], v2, v1, s[6:7]
	s_mul_hi_i32 s30, s20, 12
	s_mul_i32 s31, s20, 12
	s_lshl_b64 s[8:9], s[20:21], 2
	s_mov_b32 s21, 0
	v_mov_b32_e32 v13, 0
	s_mov_b32 s33, 0x2010007
	s_mov_b32 s34, 0x64006400
	;; [unrolled: 1-line block ×3, first 2 shown]
	s_movk_i32 s36, 0x3000
	s_movk_i32 s37, 0x2400
	s_mov_b32 s38, 0x7060302
	v_mov_b32_e32 v15, 0
	v_mov_b32_e32 v20, 0
	;; [unrolled: 1-line block ×11, first 2 shown]
	s_branch .LBB36_35
.LBB36_33:                              ;   in Loop: Header=BB36_35 Depth=1
	s_or_b64 exec, exec, s[6:7]
	v_add_u32_e32 v0, s39, v12
	v_ashrrev_i32_e32 v1, 31, v0
	v_lshlrev_b64 v[0:1], 1, v[0:1]
	s_waitcnt vmcnt(0)
	v_mov_b32_e32 v3, s17
	v_add_co_u32_e64 v0, s[6:7], s16, v0
	v_addc_co_u32_e64 v1, s[6:7], v3, v1, s[6:7]
	global_load_dwordx2 v[18:19], v[0:1], off
	s_add_i32 s29, s29, s27
	v_and_b32_e32 v34, 7, v2
	v_bfe_u32 v35, v2, 3, 3
	v_bfe_u32 v36, v2, 6, 3
	;; [unrolled: 1-line block ×3, first 2 shown]
.LBB36_34:                              ;   in Loop: Header=BB36_35 Depth=1
	global_load_dwordx4 v[8:11], v[16:17], off
	v_mov_b32_e32 v2, s9
	v_add_co_u32_e64 v0, s[6:7], s8, v16
	v_addc_co_u32_e64 v1, s[6:7], v17, v2, s[6:7]
	global_load_dwordx4 v[4:7], v[0:1], off
	v_add_co_u32_e64 v0, s[6:7], s8, v0
	v_addc_co_u32_e64 v1, s[6:7], v1, v2, s[6:7]
	global_load_dwordx4 v[0:3], v[0:1], off
	v_add_u32_e32 v39, v35, v31
	v_or_b32_e32 v84, 0xffffe400, v39
	v_cvt_f32_i32_e32 v39, v39
	v_add_u32_e32 v38, v34, v31
	v_add_u32_e32 v40, v36, v31
	;; [unrolled: 1-line block ×3, first 2 shown]
	v_or_b32_e32 v85, 0xffffe400, v38
	v_cvt_f32_i32_e32 v38, v38
	v_or_b32_e32 v81, 0xffffe400, v40
	v_cvt_f32_i32_e32 v40, v40
	;; [unrolled: 2-line block ×3, first 2 shown]
	v_cvt_f16_f32_e32 v45, v39
	v_cvt_f16_f32_e32 v44, v38
	;; [unrolled: 1-line block ×4, first 2 shown]
	v_sub_f16_e32 v79, 0xd800, v45
	v_mov_b32_e32 v90, s21
	v_sub_f16_e32 v70, 0xd800, v44
	v_sub_f16_e32 v83, 0xd800, v46
	;; [unrolled: 1-line block ×7, first 2 shown]
	s_add_i32 s6, s21, 0x400
	s_add_i32 s7, s21, 0x408
	;; [unrolled: 1-line block ×5, first 2 shown]
	s_waitcnt vmcnt(2)
	v_and_b32_e32 v38, 0x70007, v8
	v_and_b32_e32 v39, 0x380038, v8
	v_lshrrev_b32_e32 v55, 6, v8
	v_lshrrev_b32_e32 v87, 15, v8
	v_and_b32_e32 v8, 0x70007, v9
	v_and_b32_e32 v40, 0x380038, v9
	v_lshrrev_b32_e32 v66, 6, v9
	v_lshrrev_b32_e32 v86, 15, v9
	;; [unrolled: 4-line block ×4, first 2 shown]
	v_or_b32_e32 v10, 0x64006400, v38
	v_or_b32_e32 v11, 0x64006400, v39
	;; [unrolled: 1-line block ×4, first 2 shown]
	s_waitcnt vmcnt(1)
	v_and_b32_e32 v60, 0x70007, v4
	v_and_b32_e32 v54, 0x380038, v4
	v_lshrrev_b32_e32 v58, 6, v4
	v_lshrrev_b32_e32 v88, 14, v4
	v_pk_add_f16 v8, v85, v10 op_sel_hi:[0,1]
	v_pk_add_f16 v4, v84, v38 op_sel_hi:[0,1]
	v_pk_fma_f16 v10, v39, s36, v79 op_sel_hi:[1,0,0]
	ds_read2_b32 v[38:39], v90 offset1:1
	s_waitcnt vmcnt(0)
	v_and_b32_e32 v63, 0x70007, v0
	v_and_b32_e32 v64, 0x380038, v0
	v_lshrrev_b32_e32 v89, 6, v0
	v_lshrrev_b32_e32 v102, 13, v0
	v_or_b32_e32 v0, 0x64006400, v9
	v_and_b32_e32 v72, 0x70007, v6
	v_and_b32_e32 v50, 0x380038, v6
	v_lshrrev_b32_e32 v56, 6, v6
	v_lshrrev_b32_e32 v94, 14, v6
	v_pk_fma_f16 v11, v11, s36, v70 op_sel_hi:[1,0,0]
	v_and_b32_e32 v65, 0x70007, v1
	v_and_b32_e32 v71, 0x380038, v1
	v_lshrrev_b32_e32 v100, 6, v1
	v_lshrrev_b32_e32 v101, 13, v1
	v_or_b32_e32 v1, 0x64006400, v41
	v_pk_add_f16 v6, v81, v0 op_sel_hi:[0,1]
	v_or_b32_e32 v0, 0x64006400, v42
	s_waitcnt lgkmcnt(0)
	v_pk_fma_f16 v40, v8, v38, 0
	v_and_b32_e32 v69, 0x70007, v5
	v_and_b32_e32 v51, 0x380038, v5
	v_lshrrev_b32_e32 v57, 6, v5
	v_lshrrev_b32_e32 v95, 14, v5
	v_and_b32_e32 v76, 0x70007, v7
	v_and_b32_e32 v59, 0x380038, v7
	v_lshrrev_b32_e32 v62, 6, v7
	v_lshrrev_b32_e32 v93, 14, v7
	v_pk_fma_f16 v7, v1, s36, v83 op_sel_hi:[1,0,0]
	v_or_b32_e32 v1, 0x64006400, v43
	v_pk_add_f16 v5, v82, v0 op_sel_hi:[0,1]
	v_pk_fma_f16 v61, v11, v39, v40
	v_pk_fma_f16 v40, v4, v38, 0
	v_pk_fma_f16 v9, v1, s36, v103 op_sel_hi:[1,0,0]
	v_pk_fma_f16 v77, v10, v39, v40
	v_pk_fma_f16 v40, v6, v38, 0
	;; [unrolled: 1-line block ×4, first 2 shown]
	v_and_b32_e32 v38, 0x70007, v55
	v_pk_fma_f16 v80, v7, v39, v40
	v_or_b32_e32 v38, 0x64006400, v38
	v_and_b32_e32 v39, 0x380038, v55
	v_or_b32_e32 v39, 0x64006400, v39
	v_pk_add_f16 v52, v85, v38 op_sel_hi:[0,1]
	v_and_b32_e32 v38, 0x70007, v66
	v_pk_fma_f16 v53, v39, s36, v70 op_sel_hi:[1,0,0]
	v_or_b32_e32 v38, 0x64006400, v38
	v_and_b32_e32 v39, 0x380038, v66
	v_and_b32_e32 v73, 0x70007, v2
	;; [unrolled: 1-line block ×3, first 2 shown]
	v_lshrrev_b32_e32 v98, 6, v2
	v_lshrrev_b32_e32 v99, 13, v2
	v_and_b32_e32 v75, 0x70007, v3
	v_and_b32_e32 v78, 0x380038, v3
	v_lshrrev_b32_e32 v96, 6, v3
	v_lshrrev_b32_e32 v97, 13, v3
	ds_read2_b32 v[48:49], v90 offset0:2 offset1:3
	ds_read2_b32 v[2:3], v90 offset0:4 offset1:5
	;; [unrolled: 1-line block ×3, first 2 shown]
	v_or_b32_e32 v39, 0x64006400, v39
	v_pk_add_f16 v42, v84, v38 op_sel_hi:[0,1]
	v_and_b32_e32 v38, 0x70007, v67
	v_pk_fma_f16 v43, v39, s36, v79 op_sel_hi:[1,0,0]
	v_or_b32_e32 v38, 0x64006400, v38
	v_and_b32_e32 v39, 0x380038, v67
	v_or_b32_e32 v39, 0x64006400, v39
	v_pk_add_f16 v40, v81, v38 op_sel_hi:[0,1]
	v_and_b32_e32 v38, 0x70007, v68
	v_and_b32_e32 v44, 0x1c001c0, v55
	v_pk_fma_f16 v41, v39, s36, v83 op_sel_hi:[1,0,0]
	v_or_b32_e32 v38, 0x64006400, v38
	v_and_b32_e32 v39, 0x380038, v68
	s_waitcnt lgkmcnt(2)
	v_pk_fma_f16 v61, v52, v48, v61
	v_or_b32_e32 v44, 0x64006400, v44
	v_or_b32_e32 v39, 0x64006400, v39
	v_pk_add_f16 v38, v82, v38 op_sel_hi:[0,1]
	v_pk_fma_f16 v105, v53, v49, v61
	v_pk_fma_f16 v61, v42, v48, v77
	v_or_b32_e32 v45, 0x64006400, v60
	v_pk_fma_f16 v60, v44, s37, v110 op_sel_hi:[1,0,0]
	v_and_b32_e32 v44, 0x1c001c0, v66
	v_pk_fma_f16 v39, v39, s36, v103 op_sel_hi:[1,0,0]
	v_pk_fma_f16 v77, v43, v49, v61
	v_pk_fma_f16 v61, v40, v48, v80
	;; [unrolled: 1-line block ×3, first 2 shown]
	v_or_b32_e32 v44, 0x64006400, v44
	v_pk_fma_f16 v104, v39, v49, v48
	v_pk_fma_f16 v48, v44, s37, v111 op_sel_hi:[1,0,0]
	v_and_b32_e32 v44, 0x1c001c0, v67
	v_or_b32_e32 v44, 0x64006400, v44
	v_pk_fma_f16 v80, v41, v49, v61
	v_pk_add_f16 v61, v85, v45 op_sel_hi:[0,1]
	v_or_b32_e32 v45, 0x64006400, v69
	v_pk_fma_f16 v46, v44, s37, v112 op_sel_hi:[1,0,0]
	v_and_b32_e32 v44, 0x1c001c0, v68
	v_pk_add_f16 v49, v84, v45 op_sel_hi:[0,1]
	v_or_b32_e32 v45, 0x64006400, v72
	v_or_b32_e32 v44, 0x64006400, v44
	s_waitcnt lgkmcnt(1)
	v_pk_fma_f16 v55, v60, v2, v105
	v_pk_add_f16 v47, v81, v45 op_sel_hi:[0,1]
	v_or_b32_e32 v45, 0x64006400, v76
	v_pk_fma_f16 v44, v44, s37, v113 op_sel_hi:[1,0,0]
	v_pk_fma_f16 v66, v61, v3, v55
	v_pk_fma_f16 v55, v48, v2, v77
	v_pk_add_f16 v45, v82, v45 op_sel_hi:[0,1]
	v_pk_fma_f16 v67, v49, v3, v55
	v_pk_fma_f16 v55, v46, v2, v80
	;; [unrolled: 1-line block ×5, first 2 shown]
	v_and_b32_e32 v3, 0x70007, v58
	v_or_b32_e32 v3, 0x64006400, v3
	v_pk_add_f16 v68, v85, v3 op_sel_hi:[0,1]
	v_and_b32_e32 v3, 0x70007, v57
	v_or_b32_e32 v2, 0x64006400, v54
	v_or_b32_e32 v3, 0x64006400, v3
	v_pk_fma_f16 v69, v2, s36, v70 op_sel_hi:[1,0,0]
	v_or_b32_e32 v2, 0x64006400, v51
	v_pk_add_f16 v55, v84, v3 op_sel_hi:[0,1]
	v_and_b32_e32 v3, 0x70007, v56
	v_pk_fma_f16 v54, v2, s36, v79 op_sel_hi:[1,0,0]
	v_or_b32_e32 v2, 0x64006400, v50
	v_or_b32_e32 v3, 0x64006400, v3
	v_pk_fma_f16 v50, v2, s36, v83 op_sel_hi:[1,0,0]
	v_pk_add_f16 v51, v81, v3 op_sel_hi:[0,1]
	v_or_b32_e32 v2, 0x64006400, v59
	v_and_b32_e32 v3, 0x70007, v62
	s_waitcnt lgkmcnt(0)
	v_pk_fma_f16 v59, v69, v0, v66
	v_or_b32_e32 v3, 0x64006400, v3
	v_pk_fma_f16 v2, v2, s36, v103 op_sel_hi:[1,0,0]
	v_pk_fma_f16 v80, v68, v1, v59
	v_pk_fma_f16 v59, v54, v0, v67
	v_pk_add_f16 v3, v82, v3 op_sel_hi:[0,1]
	v_pk_fma_f16 v114, v55, v1, v59
	v_pk_fma_f16 v59, v50, v0, v72
	;; [unrolled: 1-line block ×5, first 2 shown]
	v_and_b32_e32 v0, 0x380038, v58
	v_and_b32_e32 v1, 0x1c001c0, v58
	v_or_b32_e32 v0, 0x64006400, v0
	v_or_b32_e32 v1, 0x64006400, v1
	ds_read2_b32 v[76:77], v90 offset0:8 offset1:9
	v_pk_fma_f16 v66, v0, s36, v70 op_sel_hi:[1,0,0]
	v_pk_fma_f16 v67, v1, s37, v110 op_sel_hi:[1,0,0]
	v_and_b32_e32 v0, 0x380038, v57
	v_and_b32_e32 v1, 0x1c001c0, v57
	v_or_b32_e32 v0, 0x64006400, v0
	v_or_b32_e32 v1, 0x64006400, v1
	v_pk_fma_f16 v58, v0, s36, v79 op_sel_hi:[1,0,0]
	v_pk_fma_f16 v59, v1, s37, v111 op_sel_hi:[1,0,0]
	v_and_b32_e32 v0, 0x380038, v56
	v_and_b32_e32 v1, 0x1c001c0, v56
	v_or_b32_e32 v0, 0x64006400, v0
	v_or_b32_e32 v1, 0x64006400, v1
	v_pk_fma_f16 v56, v0, s36, v83 op_sel_hi:[1,0,0]
	v_pk_fma_f16 v57, v1, s37, v112 op_sel_hi:[1,0,0]
	v_and_b32_e32 v0, 0x380038, v62
	v_and_b32_e32 v1, 0x1c001c0, v62
	s_waitcnt lgkmcnt(0)
	v_pk_fma_f16 v62, v66, v76, v80
	v_or_b32_e32 v0, 0x64006400, v0
	v_pk_fma_f16 v80, v67, v77, v62
	v_pk_fma_f16 v62, v58, v76, v114
	v_or_b32_e32 v1, 0x64006400, v1
	v_pk_fma_f16 v0, v0, s36, v103 op_sel_hi:[1,0,0]
	v_pk_fma_f16 v114, v59, v77, v62
	v_pk_fma_f16 v62, v56, v76, v72
	v_pk_fma_f16 v1, v1, s37, v113 op_sel_hi:[1,0,0]
	ds_read2_b32 v[104:105], v90 offset0:10 offset1:11
	ds_read2_b32 v[106:107], v90 offset0:12 offset1:13
	;; [unrolled: 1-line block ×3, first 2 shown]
	v_pk_fma_f16 v116, v57, v77, v62
	v_pk_fma_f16 v62, v0, v76, v115
	;; [unrolled: 1-line block ×3, first 2 shown]
	v_or_b32_e32 v62, 0x64006400, v63
	v_or_b32_e32 v63, 0x64006400, v64
	v_pk_add_f16 v76, v85, v62 op_sel_hi:[0,1]
	v_or_b32_e32 v62, 0x64006400, v65
	v_pk_fma_f16 v77, v63, s36, v70 op_sel_hi:[1,0,0]
	v_or_b32_e32 v63, 0x64006400, v71
	v_pk_add_f16 v71, v84, v62 op_sel_hi:[0,1]
	v_or_b32_e32 v62, 0x64006400, v73
	s_waitcnt lgkmcnt(2)
	v_pk_fma_f16 v73, v76, v104, v80
	v_pk_fma_f16 v72, v63, s36, v79 op_sel_hi:[1,0,0]
	v_or_b32_e32 v63, 0x64006400, v74
	v_pk_add_f16 v64, v81, v62 op_sel_hi:[0,1]
	v_or_b32_e32 v62, 0x64006400, v75
	v_pk_fma_f16 v117, v77, v105, v73
	v_pk_fma_f16 v73, v71, v104, v114
	v_pk_fma_f16 v65, v63, s36, v83 op_sel_hi:[1,0,0]
	v_or_b32_e32 v63, 0x64006400, v78
	v_pk_add_f16 v62, v82, v62 op_sel_hi:[0,1]
	v_pk_fma_f16 v114, v72, v105, v73
	v_pk_fma_f16 v73, v64, v104, v116
	v_pk_fma_f16 v63, v63, s36, v103 op_sel_hi:[1,0,0]
	v_pk_fma_f16 v116, v65, v105, v73
	v_pk_fma_f16 v73, v62, v104, v115
	;; [unrolled: 1-line block ×3, first 2 shown]
	v_and_b32_e32 v73, 0x380038, v89
	v_or_b32_e32 v73, 0x64006400, v73
	v_pk_fma_f16 v80, v73, s36, v70 op_sel_hi:[1,0,0]
	v_and_b32_e32 v70, 0x380038, v100
	v_or_b32_e32 v70, 0x64006400, v70
	v_and_b32_e32 v88, 0x20002, v88
	v_pk_fma_f16 v78, v70, s36, v79 op_sel_hi:[1,0,0]
	v_and_b32_e32 v70, 0x380038, v98
	v_and_b32_e32 v74, 0x70007, v89
	v_and_or_b32 v87, v87, s35, v88
	v_and_b32_e32 v88, 0x40004, v102
	v_or_b32_e32 v70, 0x64006400, v70
	v_or_b32_e32 v74, 0x64006400, v74
	v_or3_b32 v87, v87, v88, s34
	v_pk_fma_f16 v73, v70, s36, v83 op_sel_hi:[1,0,0]
	v_pk_add_f16 v83, v85, v74 op_sel_hi:[0,1]
	v_and_b32_e32 v88, 0x1c001c0, v89
	v_pk_add_f16 v89, v85, v87 op_sel_hi:[0,1]
	v_and_b32_e32 v85, 0x20002, v95
	v_and_b32_e32 v74, 0x70007, v100
	v_and_or_b32 v85, v86, s35, v85
	v_and_b32_e32 v86, 0x40004, v101
	v_or_b32_e32 v74, 0x64006400, v74
	v_or3_b32 v85, v85, v86, s34
	v_pk_add_f16 v79, v84, v74 op_sel_hi:[0,1]
	v_pk_add_f16 v87, v84, v85 op_sel_hi:[0,1]
	v_and_b32_e32 v84, 0x20002, v94
	v_and_b32_e32 v74, 0x70007, v98
	v_and_or_b32 v84, v92, s35, v84
	v_and_b32_e32 v85, 0x40004, v99
	v_or_b32_e32 v74, 0x64006400, v74
	v_or3_b32 v85, v84, v85, s34
	v_pk_add_f16 v75, v81, v74 op_sel_hi:[0,1]
	v_pk_add_f16 v85, v81, v85 op_sel_hi:[0,1]
	v_and_b32_e32 v81, 0x20002, v93
	v_and_or_b32 v81, v91, s35, v81
	v_and_b32_e32 v91, 0x40004, v97
	v_and_b32_e32 v70, 0x380038, v96
	;; [unrolled: 1-line block ×3, first 2 shown]
	v_or3_b32 v91, v81, v91, s34
	v_and_b32_e32 v81, 0x1c001c0, v96
	ds_read2_b32 v[96:97], v90 offset0:64 offset1:65
	v_or_b32_e32 v70, 0x64006400, v70
	v_or_b32_e32 v74, 0x64006400, v74
	v_pk_fma_f16 v70, v70, s36, v103 op_sel_hi:[1,0,0]
	v_pk_add_f16 v74, v82, v74 op_sel_hi:[0,1]
	s_waitcnt lgkmcnt(2)
	v_pk_fma_f16 v103, v83, v106, v117
	v_or_b32_e32 v88, 0x64006400, v88
	v_pk_fma_f16 v103, v80, v107, v103
	v_pk_fma_f16 v104, v74, v106, v104
	v_pk_fma_f16 v88, v88, s37, v110 op_sel_hi:[1,0,0]
	v_and_b32_e32 v86, 0x1c001c0, v100
	v_or_b32_e32 v81, 0x64006400, v81
	v_pk_fma_f16 v105, v79, v106, v114
	v_pk_fma_f16 v104, v70, v107, v104
	v_or_b32_e32 v86, 0x64006400, v86
	v_and_b32_e32 v84, 0x1c001c0, v98
	v_pk_fma_f16 v81, v81, s37, v113 op_sel_hi:[1,0,0]
	v_pk_add_f16 v82, v82, v91 op_sel_hi:[0,1]
	s_waitcnt lgkmcnt(1)
	v_pk_fma_f16 v91, v88, v108, v103
	ds_read2_b32 v[98:99], v90 offset0:66 offset1:67
	ds_read2_b32 v[100:101], v90 offset0:68 offset1:69
	;; [unrolled: 1-line block ×3, first 2 shown]
	v_pk_fma_f16 v105, v78, v107, v105
	v_pk_fma_f16 v86, v86, s37, v111 op_sel_hi:[1,0,0]
	v_pk_fma_f16 v94, v81, v108, v104
	s_waitcnt lgkmcnt(3)
	v_pk_fma_f16 v104, v4, v96, 0
	v_pk_fma_f16 v92, v86, v108, v105
	v_pk_fma_f16 v95, v8, v96, 0
	v_pk_fma_f16 v104, v10, v97, v104
	v_pk_fma_f16 v105, v6, v96, 0
	v_pk_fma_f16 v96, v5, v96, 0
	v_pk_fma_f16 v95, v11, v97, v95
	v_pk_fma_f16 v105, v7, v97, v105
	v_pk_fma_f16 v96, v9, v97, v96
	s_waitcnt lgkmcnt(2)
	v_pk_fma_f16 v97, v42, v98, v104
	v_pk_fma_f16 v97, v43, v99, v97
	;; [unrolled: 1-line block ×5, first 2 shown]
	s_waitcnt lgkmcnt(1)
	v_pk_fma_f16 v97, v48, v100, v97
	v_pk_fma_f16 v95, v52, v98, v95
	;; [unrolled: 1-line block ×7, first 2 shown]
	s_waitcnt lgkmcnt(0)
	v_pk_fma_f16 v97, v54, v102, v97
	v_pk_fma_f16 v96, v45, v101, v96
	;; [unrolled: 1-line block ×7, first 2 shown]
	ds_read2_b32 v[96:97], v90 offset0:72 offset1:73
	v_pk_fma_f16 v95, v60, v100, v95
	v_pk_fma_f16 v95, v61, v101, v95
	;; [unrolled: 1-line block ×6, first 2 shown]
	ds_read2_b32 v[98:99], v90 offset0:74 offset1:75
	ds_read2_b32 v[100:101], v90 offset0:76 offset1:77
	;; [unrolled: 1-line block ×3, first 2 shown]
	s_waitcnt lgkmcnt(3)
	v_pk_fma_f16 v95, v66, v96, v95
	v_pk_fma_f16 v104, v58, v96, v104
	v_pk_fma_f16 v105, v56, v96, v105
	v_pk_fma_f16 v96, v0, v96, v106
	v_pk_fma_f16 v95, v67, v97, v95
	v_pk_fma_f16 v104, v59, v97, v104
	v_pk_fma_f16 v105, v57, v97, v105
	v_pk_fma_f16 v96, v1, v97, v96
	s_waitcnt lgkmcnt(2)
	v_pk_fma_f16 v95, v76, v98, v95
	v_pk_fma_f16 v97, v71, v98, v104
	v_pk_fma_f16 v104, v64, v98, v105
	v_pk_fma_f16 v96, v62, v98, v96
	v_pk_fma_f16 v95, v77, v99, v95
	v_pk_fma_f16 v97, v72, v99, v97
	v_pk_fma_f16 v104, v65, v99, v104
	v_pk_fma_f16 v96, v63, v99, v96
	;; [unrolled: 9-line block ×3, first 2 shown]
	ds_read2_b32 v[100:101], v90 offset0:128 offset1:129
	v_or_b32_e32 v84, 0x64006400, v84
	v_pk_fma_f16 v84, v84, s37, v112 op_sel_hi:[1,0,0]
	s_waitcnt lgkmcnt(1)
	v_pk_fma_f16 v96, v86, v102, v97
	v_pk_fma_f16 v95, v88, v102, v95
	;; [unrolled: 1-line block ×9, first 2 shown]
	ds_read2_b32 v[102:103], v90 offset0:130 offset1:131
	ds_read2_b32 v[104:105], v90 offset0:132 offset1:133
	;; [unrolled: 1-line block ×3, first 2 shown]
	v_pk_fma_f16 v93, v87, v109, v92
	v_pk_fma_f16 v92, v84, v108, v114
	s_waitcnt lgkmcnt(3)
	v_pk_fma_f16 v108, v4, v100, 0
	v_pk_fma_f16 v91, v89, v109, v91
	;; [unrolled: 1-line block ×11, first 2 shown]
	s_waitcnt lgkmcnt(2)
	v_pk_fma_f16 v101, v42, v102, v108
	v_pk_fma_f16 v101, v43, v103, v101
	;; [unrolled: 1-line block ×5, first 2 shown]
	s_waitcnt lgkmcnt(1)
	v_pk_fma_f16 v101, v48, v104, v101
	v_pk_fma_f16 v99, v52, v102, v99
	;; [unrolled: 1-line block ×7, first 2 shown]
	s_waitcnt lgkmcnt(0)
	v_pk_fma_f16 v101, v54, v106, v101
	v_pk_fma_f16 v100, v45, v105, v100
	;; [unrolled: 1-line block ×7, first 2 shown]
	ds_read2_b32 v[100:101], v90 offset0:136 offset1:137
	v_pk_fma_f16 v99, v60, v104, v99
	v_pk_fma_f16 v99, v61, v105, v99
	;; [unrolled: 1-line block ×5, first 2 shown]
	ds_read2_b32 v[102:103], v90 offset0:138 offset1:139
	ds_read2_b32 v[104:105], v90 offset0:140 offset1:141
	;; [unrolled: 1-line block ×3, first 2 shown]
	s_waitcnt lgkmcnt(3)
	v_pk_fma_f16 v99, v66, v100, v99
	v_pk_fma_f16 v108, v58, v100, v108
	v_pk_fma_f16 v109, v56, v100, v109
	v_pk_fma_f16 v100, v0, v100, v110
	v_pk_fma_f16 v99, v67, v101, v99
	v_pk_fma_f16 v108, v59, v101, v108
	v_pk_fma_f16 v109, v57, v101, v109
	v_pk_fma_f16 v100, v1, v101, v100
	s_waitcnt lgkmcnt(2)
	v_pk_fma_f16 v99, v76, v102, v99
	v_pk_fma_f16 v101, v71, v102, v108
	v_pk_fma_f16 v108, v64, v102, v109
	v_pk_fma_f16 v100, v62, v102, v100
	v_pk_fma_f16 v99, v77, v103, v99
	v_pk_fma_f16 v101, v72, v103, v101
	v_pk_fma_f16 v108, v65, v103, v108
	v_pk_fma_f16 v100, v63, v103, v100
	s_waitcnt lgkmcnt(1)
	v_pk_fma_f16 v99, v83, v104, v99
	v_pk_fma_f16 v101, v79, v104, v101
	v_pk_fma_f16 v102, v75, v104, v108
	v_pk_fma_f16 v100, v74, v104, v100
	v_pk_fma_f16 v99, v80, v105, v99
	v_pk_fma_f16 v101, v78, v105, v101
	v_pk_fma_f16 v102, v73, v105, v102
	v_pk_fma_f16 v103, v70, v105, v100
	ds_read2_b32 v[104:105], v90 offset0:192 offset1:193
	s_waitcnt lgkmcnt(1)
	v_pk_fma_f16 v100, v86, v106, v101
	v_pk_fma_f16 v99, v88, v106, v99
	;; [unrolled: 1-line block ×8, first 2 shown]
	ds_read2_b32 v[106:107], v90 offset0:194 offset1:195
	ds_read2_b32 v[108:109], v90 offset0:196 offset1:197
	;; [unrolled: 1-line block ×3, first 2 shown]
	s_waitcnt lgkmcnt(3)
	v_pk_fma_f16 v112, v4, v104, 0
	v_pk_fma_f16 v103, v8, v104, 0
	;; [unrolled: 1-line block ×8, first 2 shown]
	s_waitcnt lgkmcnt(2)
	v_pk_fma_f16 v105, v42, v106, v112
	v_pk_fma_f16 v105, v43, v107, v105
	;; [unrolled: 1-line block ×5, first 2 shown]
	s_waitcnt lgkmcnt(1)
	v_pk_fma_f16 v105, v48, v108, v105
	v_pk_fma_f16 v103, v52, v106, v103
	;; [unrolled: 1-line block ×7, first 2 shown]
	s_waitcnt lgkmcnt(0)
	v_pk_fma_f16 v105, v54, v110, v105
	v_pk_fma_f16 v104, v45, v109, v104
	;; [unrolled: 1-line block ×7, first 2 shown]
	ds_read2_b32 v[104:105], v90 offset0:200 offset1:201
	v_pk_fma_f16 v103, v60, v108, v103
	v_pk_fma_f16 v103, v61, v109, v103
	;; [unrolled: 1-line block ×5, first 2 shown]
	ds_read2_b32 v[106:107], v90 offset0:202 offset1:203
	ds_read2_b32 v[108:109], v90 offset0:204 offset1:205
	;; [unrolled: 1-line block ×3, first 2 shown]
	s_waitcnt lgkmcnt(3)
	v_pk_fma_f16 v90, v66, v104, v103
	v_pk_fma_f16 v103, v58, v104, v112
	;; [unrolled: 1-line block ×6, first 2 shown]
	s_waitcnt lgkmcnt(2)
	v_pk_fma_f16 v104, v62, v106, v104
	v_pk_fma_f16 v90, v67, v105, v90
	;; [unrolled: 1-line block ×6, first 2 shown]
	s_waitcnt lgkmcnt(1)
	v_pk_fma_f16 v104, v74, v108, v104
	v_pk_fma_f16 v105, v75, v108, v105
	;; [unrolled: 1-line block ×4, first 2 shown]
	s_waitcnt lgkmcnt(0)
	v_pk_fma_f16 v104, v81, v110, v104
	v_pk_fma_f16 v90, v76, v106, v90
	v_pk_fma_f16 v103, v71, v106, v103
	v_pk_fma_f16 v105, v84, v110, v105
	v_pk_fma_f16 v113, v82, v111, v104
	v_mov_b32_e32 v104, s6
	v_pk_fma_f16 v90, v77, v107, v90
	v_pk_fma_f16 v103, v72, v107, v103
	;; [unrolled: 1-line block ×3, first 2 shown]
	ds_read2_b32 v[104:105], v104 offset1:1
	v_pk_fma_f16 v90, v83, v108, v90
	v_pk_fma_f16 v103, v79, v108, v103
	;; [unrolled: 1-line block ×6, first 2 shown]
	v_mov_b32_e32 v106, s7
	v_mov_b32_e32 v108, s10
	;; [unrolled: 1-line block ×3, first 2 shown]
	v_pk_fma_f16 v90, v89, v111, v90
	v_pk_fma_f16 v103, v87, v111, v103
	ds_read2_b32 v[106:107], v106 offset1:1
	ds_read2_b32 v[108:109], v108 offset1:1
	;; [unrolled: 1-line block ×3, first 2 shown]
	s_waitcnt lgkmcnt(3)
	v_pk_fma_f16 v114, v8, v104, 0
	v_pk_fma_f16 v114, v11, v105, v114
	;; [unrolled: 1-line block ×8, first 2 shown]
	s_waitcnt lgkmcnt(2)
	v_pk_fma_f16 v105, v52, v106, v114
	v_pk_fma_f16 v105, v53, v107, v105
	;; [unrolled: 1-line block ×7, first 2 shown]
	s_waitcnt lgkmcnt(1)
	v_pk_fma_f16 v105, v60, v108, v105
	v_pk_fma_f16 v115, v41, v107, v115
	;; [unrolled: 1-line block ×8, first 2 shown]
	s_waitcnt lgkmcnt(0)
	v_pk_fma_f16 v105, v69, v110, v105
	v_pk_fma_f16 v107, v47, v109, v107
	;; [unrolled: 1-line block ×5, first 2 shown]
	s_add_i32 s6, s21, 0x420
	v_pk_fma_f16 v115, v55, v111, v105
	v_pk_fma_f16 v105, v50, v110, v107
	;; [unrolled: 1-line block ×3, first 2 shown]
	v_mov_b32_e32 v104, s6
	v_pk_fma_f16 v116, v51, v111, v105
	ds_read2_b32 v[104:105], v104 offset1:1
	s_add_i32 s7, s21, 0x428
	s_add_i32 s10, s21, 0x430
	;; [unrolled: 1-line block ×3, first 2 shown]
	v_mov_b32_e32 v106, s7
	v_mov_b32_e32 v108, s10
	;; [unrolled: 1-line block ×3, first 2 shown]
	ds_read2_b32 v[106:107], v106 offset1:1
	ds_read2_b32 v[108:109], v108 offset1:1
	;; [unrolled: 1-line block ×3, first 2 shown]
	s_waitcnt lgkmcnt(3)
	v_pk_fma_f16 v114, v66, v104, v114
	v_pk_fma_f16 v115, v58, v104, v115
	;; [unrolled: 1-line block ×8, first 2 shown]
	s_waitcnt lgkmcnt(2)
	v_pk_fma_f16 v105, v76, v106, v114
	v_pk_fma_f16 v114, v71, v106, v115
	;; [unrolled: 1-line block ×8, first 2 shown]
	s_waitcnt lgkmcnt(1)
	v_pk_fma_f16 v105, v83, v108, v105
	v_pk_fma_f16 v106, v79, v108, v114
	;; [unrolled: 1-line block ×4, first 2 shown]
	v_pack_b32_f16 v108, v91, v93
	v_perm_b32 v91, v93, v91, s38
	v_pk_add_f16 v91, v108, v91
	v_pk_fma_f16 v30, v91, v18, v30
	v_pack_b32_f16 v91, v92, v94
	v_perm_b32 v92, v94, v92, s38
	v_pk_add_f16 v91, v91, v92
	v_pk_fma_f16 v29, v91, v19, v29
	;; [unrolled: 4-line block ×6, first 2 shown]
	v_pack_b32_f16 v91, v90, v103
	v_perm_b32 v90, v103, v90, s38
	v_pk_fma_f16 v105, v80, v109, v105
	v_pk_fma_f16 v106, v78, v109, v106
	v_pk_add_f16 v90, v91, v90
	s_waitcnt lgkmcnt(0)
	v_pk_fma_f16 v105, v88, v110, v105
	v_pk_fma_f16 v106, v86, v110, v106
	;; [unrolled: 1-line block ×3, first 2 shown]
	v_pack_b32_f16 v90, v112, v113
	v_perm_b32 v91, v113, v112, s38
	v_pk_fma_f16 v107, v73, v109, v107
	v_pk_fma_f16 v104, v70, v109, v104
	;; [unrolled: 1-line block ×4, first 2 shown]
	v_pk_add_f16 v90, v90, v91
	v_pk_fma_f16 v107, v84, v110, v107
	v_pk_fma_f16 v104, v81, v110, v104
	;; [unrolled: 1-line block ×3, first 2 shown]
	v_pack_b32_f16 v90, v105, v106
	v_perm_b32 v91, v106, v105, s38
	v_pk_fma_f16 v107, v85, v111, v107
	v_pk_fma_f16 v104, v82, v111, v104
	v_pk_add_f16 v90, v90, v91
	v_pk_fma_f16 v21, v90, v18, v21
	v_pack_b32_f16 v90, v107, v104
	v_perm_b32 v91, v104, v107, s38
	v_pk_add_f16 v90, v90, v91
	s_add_i32 s6, s21, 0x500
	v_pk_fma_f16 v20, v90, v19, v20
	v_mov_b32_e32 v90, s6
	ds_read2_b32 v[90:91], v90 offset1:1
	s_add_i32 s7, s21, 0x508
	s_add_i32 s10, s21, 0x510
	;; [unrolled: 1-line block ×3, first 2 shown]
	v_mov_b32_e32 v92, s7
	v_mov_b32_e32 v94, s10
	;; [unrolled: 1-line block ×3, first 2 shown]
	ds_read2_b32 v[92:93], v92 offset1:1
	ds_read2_b32 v[94:95], v94 offset1:1
	;; [unrolled: 1-line block ×3, first 2 shown]
	s_waitcnt lgkmcnt(3)
	v_pk_fma_f16 v8, v8, v90, 0
	v_pk_fma_f16 v8, v11, v91, v8
	;; [unrolled: 1-line block ×3, first 2 shown]
	s_waitcnt lgkmcnt(2)
	v_pk_fma_f16 v8, v52, v92, v8
	s_add_i32 s6, s21, 0x520
	v_pk_fma_f16 v4, v10, v91, v4
	v_pk_fma_f16 v8, v53, v93, v8
	v_mov_b32_e32 v11, s6
	v_pk_fma_f16 v4, v42, v92, v4
	s_waitcnt lgkmcnt(1)
	v_pk_fma_f16 v8, v60, v94, v8
	ds_read2_b32 v[52:53], v11 offset1:1
	v_pk_fma_f16 v4, v43, v93, v4
	v_pk_fma_f16 v8, v61, v95, v8
	;; [unrolled: 1-line block ×3, first 2 shown]
	s_waitcnt lgkmcnt(1)
	v_pk_fma_f16 v8, v69, v96, v8
	s_add_i32 s7, s21, 0x528
	s_add_i32 s10, s21, 0x530
	v_pk_fma_f16 v4, v49, v95, v4
	v_pk_fma_f16 v8, v68, v97, v8
	s_add_i32 s11, s21, 0x538
	v_mov_b32_e32 v60, s7
	v_mov_b32_e32 v68, s10
	v_pk_fma_f16 v4, v54, v96, v4
	v_mov_b32_e32 v11, s11
	ds_read2_b32 v[60:61], v60 offset1:1
	ds_read2_b32 v[68:69], v68 offset1:1
	;; [unrolled: 1-line block ×3, first 2 shown]
	v_pk_fma_f16 v4, v55, v97, v4
	s_waitcnt lgkmcnt(3)
	v_pk_fma_f16 v8, v66, v52, v8
	v_pk_fma_f16 v4, v58, v52, v4
	v_pk_fma_f16 v8, v67, v53, v8
	v_pk_fma_f16 v4, v59, v53, v4
	s_waitcnt lgkmcnt(2)
	v_pk_fma_f16 v8, v76, v60, v8
	v_pk_fma_f16 v4, v71, v60, v4
	v_pk_fma_f16 v8, v77, v61, v8
	;; [unrolled: 5-line block ×4, first 2 shown]
	v_pk_fma_f16 v4, v87, v99, v4
	v_pack_b32_f16 v10, v8, v4
	v_perm_b32 v4, v4, v8, s38
	v_pk_add_f16 v4, v10, v4
	v_pk_fma_f16 v15, v4, v18, v15
	v_pk_fma_f16 v4, v6, v90, 0
	;; [unrolled: 1-line block ×33, first 2 shown]
	v_pack_b32_f16 v1, v4, v0
	v_perm_b32 v0, v0, v4, s38
	v_pk_add_f16 v0, v1, v0
	v_pk_fma_f16 v13, v0, v19, v13
	v_mov_b32_e32 v0, s30
	s_add_i32 s21, s21, 64
	v_add_co_u32_e64 v16, s[6:7], s31, v16
	s_cmp_ge_i32 s25, s26
	v_addc_co_u32_e64 v17, s[6:7], v17, v0, s[6:7]
	s_cbranch_scc1 .LBB36_52
.LBB36_35:                              ; =>This Inner Loop Header: Depth=1
	s_cmp_lg_u32 s25, s29
	s_cbranch_scc1 .LBB36_34
; %bb.36:                               ;   in Loop: Header=BB36_35 Depth=1
	s_add_i32 s28, s28, 1
	s_mul_i32 s39, s28, s20
	s_ashr_i32 s6, s39, 31
	s_lshr_b32 s6, s6, 27
	s_add_i32 s6, s39, s6
	s_ashr_i32 s6, s6, 5
	v_mad_u64_u32 v[0:1], s[6:7], s6, 3, v[14:15]
	v_ashrrev_i32_e32 v1, 31, v0
	v_lshlrev_b64 v[0:1], 2, v[0:1]
	v_mov_b32_e32 v2, s15
	v_add_co_u32_e64 v0, s[6:7], s14, v0
	v_addc_co_u32_e64 v1, s[6:7], v2, v1, s[6:7]
	global_load_dword v3, v[0:1], off
                                        ; implicit-def: $vgpr2
	s_and_saveexec_b64 s[6:7], vcc
	s_xor_b64 s[6:7], exec, s[6:7]
	s_cbranch_execz .LBB36_50
; %bb.37:                               ;   in Loop: Header=BB36_35 Depth=1
                                        ; implicit-def: $vgpr2
	s_and_saveexec_b64 s[10:11], s[0:1]
	s_xor_b64 s[10:11], exec, s[10:11]
	s_cbranch_execz .LBB36_47
; %bb.38:                               ;   in Loop: Header=BB36_35 Depth=1
                                        ; implicit-def: $vgpr2
	s_and_saveexec_b64 s[12:13], s[2:3]
	;; [unrolled: 5-line block ×3, first 2 shown]
	s_xor_b64 s[22:23], exec, s[22:23]
	s_cbranch_execz .LBB36_41
; %bb.40:                               ;   in Loop: Header=BB36_35 Depth=1
	s_waitcnt vmcnt(0)
	v_lshrrev_b32_e32 v2, v32, v3
                                        ; implicit-def: $vgpr0_vgpr1
                                        ; implicit-def: $vgpr3
.LBB36_41:                              ;   in Loop: Header=BB36_35 Depth=1
	s_andn2_saveexec_b64 s[22:23], s[22:23]
	s_cbranch_execz .LBB36_43
; %bb.42:                               ;   in Loop: Header=BB36_35 Depth=1
	global_load_dword v0, v[0:1], off offset:4
	s_waitcnt vmcnt(0)
	v_alignbit_b32 v0, v0, v3, 28
	v_and_b32_e32 v2, 0xfff, v0
.LBB36_43:                              ;   in Loop: Header=BB36_35 Depth=1
	s_or_b64 exec, exec, s[22:23]
                                        ; implicit-def: $vgpr3
.LBB36_44:                              ;   in Loop: Header=BB36_35 Depth=1
	s_andn2_saveexec_b64 s[12:13], s[12:13]
	s_cbranch_execz .LBB36_46
; %bb.45:                               ;   in Loop: Header=BB36_35 Depth=1
	s_waitcnt vmcnt(0)
	v_lshrrev_b32_e32 v2, v33, v3
.LBB36_46:                              ;   in Loop: Header=BB36_35 Depth=1
	s_or_b64 exec, exec, s[12:13]
                                        ; implicit-def: $vgpr0_vgpr1
                                        ; implicit-def: $vgpr3
.LBB36_47:                              ;   in Loop: Header=BB36_35 Depth=1
	s_andn2_saveexec_b64 s[10:11], s[10:11]
	s_cbranch_execz .LBB36_49
; %bb.48:                               ;   in Loop: Header=BB36_35 Depth=1
	global_load_dword v0, v[0:1], off offset:4
	s_waitcnt vmcnt(0)
	v_perm_b32 v0, v3, v0, s33
	v_and_b32_e32 v2, 0xfff, v0
.LBB36_49:                              ;   in Loop: Header=BB36_35 Depth=1
	s_or_b64 exec, exec, s[10:11]
                                        ; implicit-def: $vgpr3
.LBB36_50:                              ;   in Loop: Header=BB36_35 Depth=1
	s_andn2_saveexec_b64 s[6:7], s[6:7]
	s_cbranch_execz .LBB36_33
; %bb.51:                               ;   in Loop: Header=BB36_35 Depth=1
	s_waitcnt vmcnt(0)
	v_lshrrev_b32_e32 v2, v26, v3
	s_branch .LBB36_33
.LBB36_52:
	s_mul_i32 s24, s24, s20
	v_add_u32_e32 v0, s24, v12
	v_ashrrev_i32_e32 v1, 31, v0
	v_lshlrev_b64 v[2:3], 1, v[0:1]
	v_mov_b32_e32 v1, s19
	v_add_co_u32_e32 v2, vcc, s18, v2
	v_addc_co_u32_e32 v3, vcc, v1, v3, vcc
	global_load_dword v5, v[2:3], off
	s_mov_b64 s[0:1], 0
.LBB36_53:                              ; =>This Inner Loop Header: Depth=1
	s_waitcnt vmcnt(0)
	v_pk_add_f16 v4, v30, v5
	global_atomic_cmpswap v1, v[2:3], v[4:5], off glc
	s_waitcnt vmcnt(0)
	v_cmp_eq_u32_e32 vcc, v5, v1
	s_or_b64 s[0:1], vcc, s[0:1]
	v_mov_b32_e32 v5, v1
	s_andn2_b64 exec, exec, s[0:1]
	s_cbranch_execnz .LBB36_53
; %bb.54:
	s_or_b64 exec, exec, s[0:1]
	global_load_dword v5, v[2:3], off offset:4
	s_mov_b64 s[0:1], 0
.LBB36_55:                              ; =>This Inner Loop Header: Depth=1
	s_waitcnt vmcnt(0)
	v_pk_add_f16 v4, v29, v5
	global_atomic_cmpswap v1, v[2:3], v[4:5], off offset:4 glc
	s_waitcnt vmcnt(0)
	v_cmp_eq_u32_e32 vcc, v5, v1
	s_or_b64 s[0:1], vcc, s[0:1]
	v_mov_b32_e32 v5, v1
	s_andn2_b64 exec, exec, s[0:1]
	s_cbranch_execnz .LBB36_55
; %bb.56:
	s_or_b64 exec, exec, s[0:1]
	v_add_u32_e32 v0, s20, v0
	v_ashrrev_i32_e32 v1, 31, v0
	v_lshlrev_b64 v[2:3], 1, v[0:1]
	v_mov_b32_e32 v1, s19
	v_add_co_u32_e32 v2, vcc, s18, v2
	v_addc_co_u32_e32 v3, vcc, v1, v3, vcc
	global_load_dword v5, v[2:3], off
	s_mov_b64 s[0:1], 0
.LBB36_57:                              ; =>This Inner Loop Header: Depth=1
	s_waitcnt vmcnt(0)
	v_pk_add_f16 v4, v28, v5
	global_atomic_cmpswap v1, v[2:3], v[4:5], off glc
	s_waitcnt vmcnt(0)
	v_cmp_eq_u32_e32 vcc, v5, v1
	s_or_b64 s[0:1], vcc, s[0:1]
	v_mov_b32_e32 v5, v1
	s_andn2_b64 exec, exec, s[0:1]
	s_cbranch_execnz .LBB36_57
; %bb.58:
	s_or_b64 exec, exec, s[0:1]
	global_load_dword v5, v[2:3], off offset:4
	s_mov_b64 s[0:1], 0
.LBB36_59:                              ; =>This Inner Loop Header: Depth=1
	s_waitcnt vmcnt(0)
	v_pk_add_f16 v4, v27, v5
	global_atomic_cmpswap v1, v[2:3], v[4:5], off offset:4 glc
	s_waitcnt vmcnt(0)
	v_cmp_eq_u32_e32 vcc, v5, v1
	s_or_b64 s[0:1], vcc, s[0:1]
	v_mov_b32_e32 v5, v1
	s_andn2_b64 exec, exec, s[0:1]
	s_cbranch_execnz .LBB36_59
; %bb.60:
	s_or_b64 exec, exec, s[0:1]
	;; [unrolled: 34-line block ×5, first 2 shown]
	v_add_u32_e32 v0, s20, v0
	v_ashrrev_i32_e32 v1, 31, v0
	v_lshlrev_b64 v[0:1], 1, v[0:1]
	v_mov_b32_e32 v2, s19
	v_add_co_u32_e32 v0, vcc, s18, v0
	v_addc_co_u32_e32 v1, vcc, v2, v1, vcc
	global_load_dword v3, v[0:1], off
	s_mov_b64 s[0:1], 0
.LBB36_73:                              ; =>This Inner Loop Header: Depth=1
	s_waitcnt vmcnt(0)
	v_pk_add_f16 v2, v15, v3
	global_atomic_cmpswap v2, v[0:1], v[2:3], off glc
	s_waitcnt vmcnt(0)
	v_cmp_eq_u32_e32 vcc, v3, v2
	s_or_b64 s[0:1], vcc, s[0:1]
	v_mov_b32_e32 v3, v2
	s_andn2_b64 exec, exec, s[0:1]
	s_cbranch_execnz .LBB36_73
; %bb.74:
	s_or_b64 exec, exec, s[0:1]
	global_load_dword v3, v[0:1], off offset:4
	s_mov_b64 s[0:1], 0
.LBB36_75:                              ; =>This Inner Loop Header: Depth=1
	s_waitcnt vmcnt(0)
	v_pk_add_f16 v2, v13, v3
	global_atomic_cmpswap v2, v[0:1], v[2:3], off offset:4 glc
	s_waitcnt vmcnt(0)
	v_cmp_eq_u32_e32 vcc, v3, v2
	s_or_b64 s[0:1], vcc, s[0:1]
	v_mov_b32_e32 v3, v2
	s_andn2_b64 exec, exec, s[0:1]
	s_cbranch_execnz .LBB36_75
.LBB36_76:
	s_endpgm
	.section	.rodata,"a",@progbits
	.p2align	6, 0x0
	.amdhsa_kernel _ZN4vllm4gptq33gemm_half_q_half_gptq_3bit_kernelILb1ELi6EEEvPK6__halfPKjS6_S4_PS2_iiiibPKi
		.amdhsa_group_segment_fixed_size 1536
		.amdhsa_private_segment_fixed_size 0
		.amdhsa_kernarg_size 72
		.amdhsa_user_sgpr_count 6
		.amdhsa_user_sgpr_private_segment_buffer 1
		.amdhsa_user_sgpr_dispatch_ptr 0
		.amdhsa_user_sgpr_queue_ptr 0
		.amdhsa_user_sgpr_kernarg_segment_ptr 1
		.amdhsa_user_sgpr_dispatch_id 0
		.amdhsa_user_sgpr_flat_scratch_init 0
		.amdhsa_user_sgpr_kernarg_preload_length 0
		.amdhsa_user_sgpr_kernarg_preload_offset 0
		.amdhsa_user_sgpr_private_segment_size 0
		.amdhsa_uses_dynamic_stack 0
		.amdhsa_system_sgpr_private_segment_wavefront_offset 0
		.amdhsa_system_sgpr_workgroup_id_x 1
		.amdhsa_system_sgpr_workgroup_id_y 1
		.amdhsa_system_sgpr_workgroup_id_z 1
		.amdhsa_system_sgpr_workgroup_info 0
		.amdhsa_system_vgpr_workitem_id 0
		.amdhsa_next_free_vgpr 118
		.amdhsa_next_free_sgpr 40
		.amdhsa_accum_offset 120
		.amdhsa_reserve_vcc 1
		.amdhsa_reserve_flat_scratch 0
		.amdhsa_float_round_mode_32 0
		.amdhsa_float_round_mode_16_64 0
		.amdhsa_float_denorm_mode_32 3
		.amdhsa_float_denorm_mode_16_64 3
		.amdhsa_dx10_clamp 1
		.amdhsa_ieee_mode 1
		.amdhsa_fp16_overflow 0
		.amdhsa_tg_split 0
		.amdhsa_exception_fp_ieee_invalid_op 0
		.amdhsa_exception_fp_denorm_src 0
		.amdhsa_exception_fp_ieee_div_zero 0
		.amdhsa_exception_fp_ieee_overflow 0
		.amdhsa_exception_fp_ieee_underflow 0
		.amdhsa_exception_fp_ieee_inexact 0
		.amdhsa_exception_int_div_zero 0
	.end_amdhsa_kernel
	.section	.text._ZN4vllm4gptq33gemm_half_q_half_gptq_3bit_kernelILb1ELi6EEEvPK6__halfPKjS6_S4_PS2_iiiibPKi,"axG",@progbits,_ZN4vllm4gptq33gemm_half_q_half_gptq_3bit_kernelILb1ELi6EEEvPK6__halfPKjS6_S4_PS2_iiiibPKi,comdat
.Lfunc_end36:
	.size	_ZN4vllm4gptq33gemm_half_q_half_gptq_3bit_kernelILb1ELi6EEEvPK6__halfPKjS6_S4_PS2_iiiibPKi, .Lfunc_end36-_ZN4vllm4gptq33gemm_half_q_half_gptq_3bit_kernelILb1ELi6EEEvPK6__halfPKjS6_S4_PS2_iiiibPKi
                                        ; -- End function
	.section	.AMDGPU.csdata,"",@progbits
; Kernel info:
; codeLenInByte = 9352
; NumSgprs: 44
; NumVgprs: 118
; NumAgprs: 0
; TotalNumVgprs: 118
; ScratchSize: 0
; MemoryBound: 0
; FloatMode: 240
; IeeeMode: 1
; LDSByteSize: 1536 bytes/workgroup (compile time only)
; SGPRBlocks: 5
; VGPRBlocks: 14
; NumSGPRsForWavesPerEU: 44
; NumVGPRsForWavesPerEU: 118
; AccumOffset: 120
; Occupancy: 4
; WaveLimiterHint : 0
; COMPUTE_PGM_RSRC2:SCRATCH_EN: 0
; COMPUTE_PGM_RSRC2:USER_SGPR: 6
; COMPUTE_PGM_RSRC2:TRAP_HANDLER: 0
; COMPUTE_PGM_RSRC2:TGID_X_EN: 1
; COMPUTE_PGM_RSRC2:TGID_Y_EN: 1
; COMPUTE_PGM_RSRC2:TGID_Z_EN: 1
; COMPUTE_PGM_RSRC2:TIDIG_COMP_CNT: 0
; COMPUTE_PGM_RSRC3_GFX90A:ACCUM_OFFSET: 29
; COMPUTE_PGM_RSRC3_GFX90A:TG_SPLIT: 0
	.section	.text._ZN4vllm4gptq33gemm_half_q_half_gptq_4bit_kernelILb1ELi6EEEvPK6__halfPKjS6_S4_PS2_iiiibPKi,"axG",@progbits,_ZN4vllm4gptq33gemm_half_q_half_gptq_4bit_kernelILb1ELi6EEEvPK6__halfPKjS6_S4_PS2_iiiibPKi,comdat
	.protected	_ZN4vllm4gptq33gemm_half_q_half_gptq_4bit_kernelILb1ELi6EEEvPK6__halfPKjS6_S4_PS2_iiiibPKi ; -- Begin function _ZN4vllm4gptq33gemm_half_q_half_gptq_4bit_kernelILb1ELi6EEEvPK6__halfPKjS6_S4_PS2_iiiibPKi
	.globl	_ZN4vllm4gptq33gemm_half_q_half_gptq_4bit_kernelILb1ELi6EEEvPK6__halfPKjS6_S4_PS2_iiiibPKi
	.p2align	8
	.type	_ZN4vllm4gptq33gemm_half_q_half_gptq_4bit_kernelILb1ELi6EEEvPK6__halfPKjS6_S4_PS2_iiiibPKi,@function
_ZN4vllm4gptq33gemm_half_q_half_gptq_4bit_kernelILb1ELi6EEEvPK6__halfPKjS6_S4_PS2_iiiibPKi: ; @_ZN4vllm4gptq33gemm_half_q_half_gptq_4bit_kernelILb1ELi6EEEvPK6__halfPKjS6_S4_PS2_iiiibPKi
; %bb.0:
	s_mov_b64 s[30:31], s[2:3]
	s_load_dwordx8 s[12:19], s[4:5], 0x8
	s_load_dwordx4 s[20:23], s[4:5], 0x2c
	s_mov_b64 s[28:29], s[0:1]
	s_add_u32 s28, s28, s9
	s_addc_u32 s29, s29, 0
	s_lshl_b32 s24, s8, 7
	s_add_i32 s0, s24, 0x80
	v_cvt_f64_u32_e32 v[2:3], s0
	s_waitcnt lgkmcnt(0)
	v_cvt_f64_i32_e32 v[4:5], s21
	v_min_f64 v[2:3], v[2:3], v[4:5]
	v_cvt_i32_f64_e32 v1, v[2:3]
	v_add_u32_e32 v2, s24, v0
	s_mul_i32 s7, s7, 6
	v_readfirstlane_b32 s25, v1
	v_cmp_lt_u32_e32 vcc, v2, v1
	s_and_saveexec_b64 s[2:3], vcc
	s_cbranch_execz .LBB37_14
; %bb.1:
	s_load_dwordx2 s[0:1], s[4:5], 0x40
	s_load_dwordx2 s[8:9], s[4:5], 0x0
	v_mov_b32_e32 v3, 0
	v_lshlrev_b64 v[4:5], 2, v[2:3]
	v_pk_mov_b32 v[6:7], v[2:3], v[2:3] op_sel:[0,1]
	s_waitcnt lgkmcnt(0)
	s_cmp_lg_u64 s[0:1], 0
	v_mov_b32_e32 v1, s1
	v_add_co_u32_e32 v4, vcc, s0, v4
	s_cselect_b64 s[4:5], -1, 0
	s_cmp_eq_u64 s[0:1], 0
	v_addc_co_u32_e32 v5, vcc, v1, v5, vcc
	s_cbranch_scc1 .LBB37_3
; %bb.2:
	global_load_dword v6, v[4:5], off
	s_waitcnt vmcnt(0)
	v_ashrrev_i32_e32 v7, 31, v6
.LBB37_3:
	s_mul_i32 s10, s7, s21
	s_ashr_i32 s11, s10, 31
	s_lshl_b64 s[0:1], s[10:11], 1
	s_add_u32 s0, s8, s0
	s_addc_u32 s1, s9, s1
	v_lshlrev_b64 v[6:7], 1, v[6:7]
	v_mov_b32_e32 v1, s1
	v_add_co_u32_e32 v6, vcc, s0, v6
	v_addc_co_u32_e32 v7, vcc, v1, v7, vcc
	global_load_ushort v6, v[6:7], off
	v_lshlrev_b32_e32 v1, 1, v0
	v_cndmask_b32_e64 v7, 0, 1, s[4:5]
	v_cmp_ne_u32_e64 s[0:1], 1, v7
	s_andn2_b64 vcc, exec, s[4:5]
	s_waitcnt vmcnt(0)
	ds_write_b16 v1, v6
	v_pk_mov_b32 v[6:7], v[2:3], v[2:3] op_sel:[0,1]
	s_cbranch_vccnz .LBB37_5
; %bb.4:
	global_load_dword v6, v[4:5], off
	s_waitcnt vmcnt(0)
	v_ashrrev_i32_e32 v7, 31, v6
.LBB37_5:
	s_add_i32 s4, s10, s21
	s_ashr_i32 s5, s4, 31
	s_lshl_b64 s[10:11], s[4:5], 1
	s_add_u32 s5, s8, s10
	s_addc_u32 s10, s9, s11
	v_lshlrev_b64 v[6:7], 1, v[6:7]
	v_mov_b32_e32 v8, s10
	v_add_co_u32_e32 v6, vcc, s5, v6
	v_addc_co_u32_e32 v7, vcc, v8, v7, vcc
	global_load_ushort v6, v[6:7], off
	s_and_b64 vcc, exec, s[0:1]
	s_waitcnt vmcnt(0)
	ds_write_b16 v1, v6 offset:256
	v_pk_mov_b32 v[6:7], v[2:3], v[2:3] op_sel:[0,1]
	s_cbranch_vccnz .LBB37_7
; %bb.6:
	global_load_dword v6, v[4:5], off
	s_waitcnt vmcnt(0)
	v_ashrrev_i32_e32 v7, 31, v6
.LBB37_7:
	s_add_i32 s4, s4, s21
	s_ashr_i32 s5, s4, 31
	s_lshl_b64 s[10:11], s[4:5], 1
	s_add_u32 s5, s8, s10
	s_addc_u32 s10, s9, s11
	v_lshlrev_b64 v[6:7], 1, v[6:7]
	v_mov_b32_e32 v8, s10
	v_add_co_u32_e32 v6, vcc, s5, v6
	v_addc_co_u32_e32 v7, vcc, v8, v7, vcc
	global_load_ushort v6, v[6:7], off
	s_and_b64 vcc, exec, s[0:1]
	s_waitcnt vmcnt(0)
	ds_write_b16 v1, v6 offset:512
	;; [unrolled: 20-line block ×4, first 2 shown]
	s_cbranch_vccnz .LBB37_13
; %bb.12:
	global_load_dword v2, v[4:5], off
	s_waitcnt vmcnt(0)
	v_ashrrev_i32_e32 v3, 31, v2
.LBB37_13:
	s_add_i32 s0, s4, s21
	s_ashr_i32 s1, s0, 31
	s_lshl_b64 s[0:1], s[0:1], 1
	s_add_u32 s0, s8, s0
	s_addc_u32 s1, s9, s1
	v_lshlrev_b64 v[2:3], 1, v[2:3]
	v_mov_b32_e32 v4, s1
	v_add_co_u32_e32 v2, vcc, s0, v2
	v_addc_co_u32_e32 v3, vcc, v4, v3, vcc
	global_load_ushort v2, v[2:3], off
	s_waitcnt vmcnt(0)
	ds_write_b16 v1, v2 offset:1280
.LBB37_14:
	s_or_b64 exec, exec, s[2:3]
	v_lshlrev_b32_e32 v1, 2, v0
	v_lshl_add_u32 v4, s6, 9, v1
	v_mov_b32_e32 v2, v4
	v_cmp_gt_i32_e32 vcc, s20, v4
	buffer_store_dword v2, off, s[28:31], 0 offset:28 ; 4-byte Folded Spill
	s_nop 0
	buffer_store_dword v3, off, s[28:31], 0 offset:32 ; 4-byte Folded Spill
	s_and_saveexec_b64 s[0:1], vcc
	s_cbranch_execz .LBB37_45
; %bb.15:
	s_abs_i32 s0, s22
	v_cvt_f32_u32_e32 v1, s0
	s_mov_b32 s4, 0
	v_mov_b32_e32 v21, 0
	v_mov_b32_e32 v20, 0
	v_rcp_iflag_f32_e32 v1, v1
	v_mov_b32_e32 v17, 0
	v_mov_b32_e32 v16, 0
	s_cmp_ge_i32 s24, s25
	v_mul_f32_e32 v1, 0x4f7ffffe, v1
	v_cvt_u32_f32_e32 v1, v1
	v_mov_b32_e32 v15, 0
	v_mov_b32_e32 v14, 0
	;; [unrolled: 1-line block ×3, first 2 shown]
	v_readfirstlane_b32 s1, v1
	v_mov_b32_e32 v12, 0
	v_mov_b32_e32 v9, 0
	;; [unrolled: 1-line block ×5, first 2 shown]
	s_waitcnt lgkmcnt(0)
	s_barrier
	s_cbranch_scc1 .LBB37_21
; %bb.16:
	buffer_load_dword v2, off, s[28:31], 0 offset:28 ; 4-byte Folded Reload
	buffer_load_dword v3, off, s[28:31], 0 offset:32 ; 4-byte Folded Reload
	s_sub_i32 s6, 0, s0
	s_mul_i32 s6, s6, s1
	s_mul_hi_u32 s6, s1, s6
	s_abs_i32 s5, s21
	s_add_i32 s1, s1, s6
	s_ashr_i32 s2, s21, 31
	s_ashr_i32 s3, s22, 31
	s_mul_hi_u32 s1, s5, s1
	s_xor_b32 s2, s2, s3
	s_mul_i32 s3, s1, s0
	s_sub_i32 s3, s5, s3
	s_add_i32 s5, s1, 1
	s_sub_i32 s6, s3, s0
	s_cmp_ge_u32 s3, s0
	s_cselect_b32 s1, s5, s1
	s_cselect_b32 s3, s6, s3
	s_add_i32 s5, s1, 1
	s_cmp_ge_u32 s3, s0
	s_cselect_b32 s0, s5, s1
	s_xor_b32 s0, s0, s2
	s_sub_i32 s5, s0, s2
	v_cvt_f32_u32_e32 v1, s5
	s_bitcmp1_b32 s23, 0
	s_cselect_b64 s[0:1], -1, 0
	s_sub_i32 s2, 0, s5
	v_rcp_iflag_f32_e32 v1, v1
	s_xor_b64 s[0:1], s[0:1], -1
	v_lshlrev_b32_e32 v5, 4, v0
	v_and_b32_e32 v10, 16, v5
	v_mul_f32_e32 v1, 0x4f7ffffe, v1
	v_cvt_u32_f32_e32 v1, v1
	s_movk_i32 s9, 0x2c00
	v_readfirstlane_b32 s3, v1
	s_mul_i32 s2, s2, s3
	s_mul_hi_u32 s2, s3, s2
	s_add_i32 s3, s3, s2
	s_mul_hi_u32 s2, s24, s3
	s_mul_i32 s3, s2, s5
	s_sub_i32 s3, s24, s3
	s_add_i32 s6, s2, 1
	s_sub_i32 s8, s3, s5
	s_cmp_ge_u32 s3, s5
	s_cselect_b32 s2, s6, s2
	s_cselect_b32 s3, s8, s3
	s_add_i32 s6, s2, 1
	s_cmp_ge_u32 s3, s5
	s_cselect_b32 s6, s6, s2
	s_mul_i32 s2, s6, s20
	s_ashr_i32 s3, s2, 31
	s_lshr_b32 s3, s3, 29
	v_mov_b32_e32 v1, s17
	s_mov_b32 s8, 0x5040100
	s_waitcnt vmcnt(1)
	v_mov_b32_e32 v8, v2
	v_ashrrev_i32_e32 v9, 31, v8
	v_lshrrev_b32_e32 v2, 29, v9
	v_add_u32_e32 v2, v8, v2
	v_ashrrev_i32_e32 v4, 3, v2
	v_add_u32_e32 v2, s2, v8
	s_add_i32 s2, s2, s3
	s_waitcnt vmcnt(0)
	v_ashrrev_i32_e32 v3, 31, v2
	s_ashr_i32 s2, s2, 3
	v_lshlrev_b64 v[2:3], 1, v[2:3]
	v_add_u32_e32 v6, s2, v4
	v_add_co_u32_e32 v2, vcc, s16, v2
	v_ashrrev_i32_e32 v7, 31, v6
	v_addc_co_u32_e32 v3, vcc, v1, v3, vcc
	v_lshlrev_b64 v[6:7], 2, v[6:7]
	v_mov_b32_e32 v1, s15
	v_add_co_u32_e32 v6, vcc, s14, v6
	v_addc_co_u32_e32 v7, vcc, v1, v7, vcc
	buffer_store_dword v4, off, s[28:31], 0 offset:36 ; 4-byte Folded Spill
	global_load_dword v4, v[6:7], off
	v_mov_b32_e32 v0, v8
	global_load_dwordx2 v[2:3], v[2:3], off
	s_nop 0
	buffer_store_dword v0, off, s[28:31], 0 offset:28 ; 4-byte Folded Spill
	s_nop 0
	buffer_store_dword v1, off, s[28:31], 0 offset:32 ; 4-byte Folded Spill
	v_lshlrev_b64 v[0:1], 2, v[8:9]
	v_cndmask_b32_e64 v8, 0, 1, s[0:1]
	s_lshr_b32 s0, s24, 3
	s_mul_i32 s0, s0, s20
	s_ashr_i32 s1, s0, 31
	s_lshl_b64 s[0:1], s[0:1], 2
	s_add_u32 s11, s12, s0
	s_addc_u32 s0, s13, s1
	v_mov_b32_e32 v15, s0
	v_add_co_u32_e32 v16, vcc, s11, v0
	v_addc_co_u32_e32 v17, vcc, v15, v1, vcc
	v_mov_b32_e32 v6, 0
	s_ashr_i32 s21, s20, 31
	v_mov_b32_e32 v7, v6
	v_mov_b32_e32 v42, v6
	;; [unrolled: 1-line block ×10, first 2 shown]
	s_add_i32 s10, s5, s24
	s_lshl_b64 s[0:1], s[20:21], 4
	s_lshl_b64 s[2:3], s[20:21], 2
	v_mov_b32_e32 v34, v6
	v_mov_b32_e32 v35, v6
	;; [unrolled: 1-line block ×11, first 2 shown]
	buffer_store_dword v10, off, s[28:31], 0 offset:40 ; 4-byte Folded Spill
	buffer_store_dword v8, off, s[28:31], 0 offset:44 ; 4-byte Folded Spill
	s_waitcnt vmcnt(5)
	v_lshrrev_b32_e32 v0, v5, v4
	v_bfe_u32 v1, v4, v10, 4
	s_waitcnt vmcnt(4)
	v_cvt_f32_f16_e32 v20, v2
	v_cvt_f32_f16_sdwa v21, v2 dst_sel:DWORD dst_unused:UNUSED_PAD src0_sel:WORD_1
	v_cvt_f32_f16_e32 v22, v3
	v_cvt_f32_f16_sdwa v23, v3 dst_sel:DWORD dst_unused:UNUSED_PAD src0_sel:WORD_1
	v_bfe_u32 v2, v0, 12, 4
	v_bfe_u32 v3, v0, 8, 4
	;; [unrolled: 1-line block ×3, first 2 shown]
	v_add_u32_e32 v1, v1, v8
	v_add_u32_e32 v2, v2, v8
	;; [unrolled: 1-line block ×4, first 2 shown]
	v_cvt_f32_ubyte0_e32 v4, v1
	v_or_b32_e32 v1, 0xffffe400, v1
	v_cvt_f32_ubyte0_e32 v5, v2
	v_or_b32_e32 v2, 0xffffe400, v2
	;; [unrolled: 2-line block ×3, first 2 shown]
	v_cvt_f32_ubyte0_e32 v18, v0
	v_cvt_f16_f32_e32 v4, v4
	v_perm_b32 v46, v1, v1, s8
	v_cvt_f16_f32_e32 v1, v5
	v_perm_b32 v49, v2, v2, s8
	;; [unrolled: 2-line block ×3, first 2 shown]
	v_cvt_f16_f32_e32 v3, v18
	v_or_b32_e32 v0, 0xffffe400, v0
	v_perm_b32 v47, v0, v0, s8
	v_sub_f16_e32 v0, 0xd400, v4
	v_sub_f16_e32 v1, 0xd400, v1
	;; [unrolled: 1-line block ×4, first 2 shown]
	v_pack_b32_f16 v50, v0, v0
	v_pack_b32_f16 v53, v1, v1
	;; [unrolled: 1-line block ×4, first 2 shown]
	v_mov_b32_e32 v15, v6
	v_mov_b32_e32 v18, v6
	s_branch .LBB37_18
.LBB37_17:                              ;   in Loop: Header=BB37_18 Depth=1
	global_load_dwordx4 v[0:3], v[16:17], off
	v_mov_b32_e32 v66, s4
	ds_read2_b32 v[36:37], v66 offset1:1
	ds_read2_b32 v[38:39], v66 offset0:2 offset1:3
	ds_read2_b32 v[40:41], v66 offset0:64 offset1:65
	;; [unrolled: 1-line block ×3, first 2 shown]
	v_mov_b32_e32 v91, s3
	s_add_i32 s11, s4, 0x400
	s_add_i32 s24, s24, 32
	s_waitcnt vmcnt(0)
	v_and_b32_e32 v4, 0xf000f, v0
	v_and_b32_e32 v5, 0xf000f0, v0
	v_lshrrev_b32_e32 v0, 8, v0
	v_or_b32_e32 v4, 0x64006400, v4
	v_and_b32_e32 v59, 0xf000f, v0
	v_and_b32_e32 v0, 0xf000f0, v0
	;; [unrolled: 1-line block ×4, first 2 shown]
	v_lshrrev_b32_e32 v1, 8, v1
	v_and_b32_e32 v55, 0xf000f, v2
	v_and_b32_e32 v56, 0xf000f0, v2
	v_lshrrev_b32_e32 v2, 8, v2
	v_and_b32_e32 v57, 0xf000f, v3
	v_and_b32_e32 v58, 0xf000f0, v3
	v_lshrrev_b32_e32 v3, 8, v3
	v_or_b32_e32 v5, 0x64006400, v5
	v_or_b32_e32 v0, 0x64006400, v0
	v_pk_add_f16 v4, v46, v4
	v_or_b32_e32 v44, 0x64006400, v44
	v_and_b32_e32 v60, 0xf000f, v1
	v_and_b32_e32 v1, 0xf000f0, v1
	v_or_b32_e32 v55, 0x64006400, v55
	v_or_b32_e32 v56, 0x64006400, v56
	v_and_b32_e32 v61, 0xf000f, v2
	v_and_b32_e32 v2, 0xf000f0, v2
	v_or_b32_e32 v57, 0x64006400, v57
	v_and_b32_e32 v62, 0xf000f, v3
	v_and_b32_e32 v3, 0xf000f0, v3
	v_or_b32_e32 v59, 0x64006400, v59
	v_pk_fma_f16 v5, v5, s9, v50 op_sel_hi:[1,0,1]
	v_pk_fma_f16 v76, v0, s9, v50 op_sel_hi:[1,0,1]
	s_waitcnt lgkmcnt(3)
	v_pk_fma_f16 v0, v4, v36, 0
	v_or_b32_e32 v54, 0x64006400, v54
	v_or_b32_e32 v58, 0x64006400, v58
	;; [unrolled: 1-line block ×3, first 2 shown]
	v_pk_add_f16 v44, v47, v44
	v_or_b32_e32 v2, 0x64006400, v2
	v_pk_add_f16 v55, v48, v55
	v_pk_fma_f16 v73, v56, s9, v52 op_sel_hi:[1,0,1]
	v_or_b32_e32 v56, 0x64006400, v62
	v_or_b32_e32 v3, 0x64006400, v3
	v_pk_add_f16 v74, v49, v57
	v_pk_add_f16 v57, v46, v59
	v_pk_fma_f16 v0, v5, v37, v0
	v_or_b32_e32 v60, 0x64006400, v60
	v_pk_fma_f16 v54, v54, s9, v51 op_sel_hi:[1,0,1]
	v_or_b32_e32 v61, 0x64006400, v61
	v_pk_fma_f16 v75, v58, s9, v53 op_sel_hi:[1,0,1]
	v_pk_fma_f16 v78, v1, s9, v51 op_sel_hi:[1,0,1]
	;; [unrolled: 1-line block ×3, first 2 shown]
	v_pk_add_f16 v83, v49, v56
	v_pk_fma_f16 v84, v3, s9, v53 op_sel_hi:[1,0,1]
	v_pk_fma_f16 v1, v44, v36, 0
	v_pk_fma_f16 v2, v55, v36, 0
	;; [unrolled: 1-line block ×3, first 2 shown]
	s_waitcnt lgkmcnt(1)
	v_pk_fma_f16 v36, v4, v40, 0
	v_pk_fma_f16 v56, v44, v40, 0
	;; [unrolled: 1-line block ×5, first 2 shown]
	v_pk_add_f16 v77, v47, v60
	v_pk_add_f16 v79, v48, v61
	v_pk_fma_f16 v1, v54, v37, v1
	v_pk_fma_f16 v2, v73, v37, v2
	;; [unrolled: 1-line block ×11, first 2 shown]
	s_waitcnt lgkmcnt(0)
	v_pk_fma_f16 v36, v57, v42, v36
	v_pk_fma_f16 v37, v77, v42, v37
	;; [unrolled: 1-line block ×4, first 2 shown]
	v_add_co_u32_e32 v0, vcc, s2, v16
	v_pk_fma_f16 v90, v78, v39, v1
	v_addc_co_u32_e32 v1, vcc, v17, v91, vcc
	v_pk_fma_f16 v85, v80, v39, v2
	v_pk_fma_f16 v9, v84, v39, v3
	;; [unrolled: 1-line block ×5, first 2 shown]
	ds_read2_b32 v[2:3], v66 offset0:128 offset1:129
	ds_read2_b32 v[40:41], v66 offset0:130 offset1:131
	global_load_dwordx4 v[36:39], v[0:1], off
	v_pk_fma_f16 v72, v84, v43, v42
	s_waitcnt lgkmcnt(1)
	v_pk_fma_f16 v42, v4, v2, 0
	v_pk_fma_f16 v42, v5, v3, v42
	s_waitcnt lgkmcnt(0)
	v_pk_fma_f16 v42, v57, v40, v42
	v_pk_fma_f16 v69, v76, v41, v42
	;; [unrolled: 1-line block ×10, first 2 shown]
	ds_read2_b32 v[42:43], v66 offset0:192 offset1:193
	v_pk_fma_f16 v2, v74, v2, 0
	v_pk_fma_f16 v56, v75, v3, v2
	ds_read2_b32 v[2:3], v66 offset0:194 offset1:195
	v_pk_fma_f16 v40, v83, v40, v56
	v_pk_fma_f16 v68, v84, v41, v40
	s_waitcnt lgkmcnt(1)
	v_pk_fma_f16 v40, v4, v42, 0
	v_pk_fma_f16 v40, v5, v43, v40
	s_waitcnt lgkmcnt(0)
	v_pk_fma_f16 v40, v57, v2, v40
	v_pk_fma_f16 v64, v76, v3, v40
	;; [unrolled: 1-line block ×12, first 2 shown]
	v_mov_b32_e32 v40, s11
	ds_read2_b32 v[40:41], v40 offset1:1
	s_add_i32 s11, s4, 0x408
	v_mov_b32_e32 v42, s11
	ds_read2_b32 v[42:43], v42 offset1:1
	v_pk_fma_f16 v2, v83, v2, v56
	v_pk_fma_f16 v63, v84, v3, v2
	s_waitcnt lgkmcnt(1)
	v_pk_fma_f16 v2, v4, v40, 0
	v_pk_fma_f16 v2, v5, v41, v2
	s_waitcnt lgkmcnt(0)
	v_pk_fma_f16 v2, v57, v42, v2
	v_pk_fma_f16 v60, v76, v43, v2
	;; [unrolled: 1-line block ×11, first 2 shown]
	s_add_i32 s11, s4, 0x500
	v_pk_fma_f16 v56, v75, v41, v2
	v_mov_b32_e32 v2, s11
	ds_read2_b32 v[2:3], v2 offset1:1
	s_add_i32 s11, s4, 0x508
	v_mov_b32_e32 v40, s11
	ds_read2_b32 v[40:41], v40 offset1:1
	v_pk_fma_f16 v42, v83, v42, v56
	v_pk_fma_f16 v59, v84, v43, v42
	ds_read2_b32 v[42:43], v66 offset0:70 offset1:71
	s_waitcnt lgkmcnt(2)
	v_pk_fma_f16 v4, v4, v2, 0
	v_pk_fma_f16 v4, v5, v3, v4
	s_waitcnt lgkmcnt(1)
	v_pk_fma_f16 v4, v57, v40, v4
	v_pk_fma_f16 v56, v76, v41, v4
	;; [unrolled: 1-line block ×11, first 2 shown]
	buffer_store_dword v4, off, s[28:31], 0 offset:24 ; 4-byte Folded Spill
	v_pk_fma_f16 v2, v75, v3, v2
	s_waitcnt vmcnt(1)
	v_lshrrev_b32_e32 v4, 8, v36
	v_pk_fma_f16 v2, v83, v40, v2
	v_and_b32_e32 v5, 0xf000f, v4
	v_and_b32_e32 v4, 0xf000f0, v4
	v_pk_fma_f16 v55, v84, v41, v2
	v_and_b32_e32 v2, 0xf000f, v36
	v_or_b32_e32 v4, 0x64006400, v4
	v_or_b32_e32 v2, 0x64006400, v2
	v_and_b32_e32 v3, 0xf000f0, v36
	v_or_b32_e32 v5, 0x64006400, v5
	v_pk_fma_f16 v84, v4, s9, v50 op_sel_hi:[1,0,1]
	v_lshrrev_b32_e32 v4, 8, v37
	v_or_b32_e32 v3, 0x64006400, v3
	v_pk_add_f16 v76, v46, v2
	v_pk_add_f16 v83, v46, v5
	v_and_b32_e32 v2, 0xf000f, v37
	v_and_b32_e32 v5, 0xf000f, v4
	;; [unrolled: 1-line block ×3, first 2 shown]
	v_pk_fma_f16 v77, v3, s9, v50 op_sel_hi:[1,0,1]
	v_or_b32_e32 v2, 0x64006400, v2
	v_and_b32_e32 v3, 0xf000f0, v37
	v_or_b32_e32 v4, 0x64006400, v4
	v_or_b32_e32 v3, 0x64006400, v3
	;; [unrolled: 1-line block ×3, first 2 shown]
	v_pk_add_f16 v92, v47, v2
	v_pk_fma_f16 v95, v4, s9, v51 op_sel_hi:[1,0,1]
	v_and_b32_e32 v2, 0xf000f, v38
	v_lshrrev_b32_e32 v4, 8, v38
	v_pk_fma_f16 v93, v3, s9, v51 op_sel_hi:[1,0,1]
	v_pk_add_f16 v94, v47, v5
	v_or_b32_e32 v2, 0x64006400, v2
	v_and_b32_e32 v3, 0xf000f0, v38
	v_and_b32_e32 v5, 0xf000f, v4
	;; [unrolled: 1-line block ×3, first 2 shown]
	v_or_b32_e32 v3, 0x64006400, v3
	v_or_b32_e32 v4, 0x64006400, v4
	v_pk_add_f16 v96, v48, v2
	v_and_b32_e32 v2, 0xf000f, v39
	v_pk_fma_f16 v97, v3, s9, v52 op_sel_hi:[1,0,1]
	v_pk_fma_f16 v99, v4, s9, v52 op_sel_hi:[1,0,1]
	v_or_b32_e32 v4, 0x64006400, v2
	v_and_b32_e32 v2, 0xf000f0, v39
	v_lshrrev_b32_e32 v3, 8, v39
	ds_read2_b32 v[38:39], v66 offset0:4 offset1:5
	v_or_b32_e32 v36, 0x64006400, v2
	v_pk_fma_f16 v104, v36, s9, v53 op_sel_hi:[1,0,1]
	ds_read2_b32 v[36:37], v66 offset0:6 offset1:7
	v_and_b32_e32 v2, 0xf000f, v3
	v_or_b32_e32 v2, 0x64006400, v2
	v_pk_add_f16 v105, v49, v2
	s_waitcnt lgkmcnt(1)
	v_pk_fma_f16 v2, v76, v38, 0
	v_pk_fma_f16 v2, v77, v39, v2
	s_waitcnt lgkmcnt(0)
	v_pk_fma_f16 v2, v83, v36, v2
	v_pk_fma_f16 v102, v84, v37, v2
	;; [unrolled: 1-line block ×5, first 2 shown]
	v_or_b32_e32 v5, 0x64006400, v5
	v_pk_fma_f16 v103, v95, v37, v2
	v_pk_fma_f16 v2, v96, v38, 0
	v_pk_add_f16 v98, v48, v5
	v_and_b32_e32 v3, 0xf000f0, v3
	v_pk_fma_f16 v2, v97, v39, v2
	v_or_b32_e32 v3, 0x64006400, v3
	v_pk_fma_f16 v2, v98, v36, v2
	v_pk_fma_f16 v106, v3, s9, v53 op_sel_hi:[1,0,1]
	v_pk_fma_f16 v118, v99, v37, v2
	ds_read2_b32 v[2:3], v66 offset0:68 offset1:69
	v_pk_add_f16 v100, v49, v4
	v_pk_fma_f16 v4, v100, v38, 0
	v_pk_fma_f16 v4, v104, v39, v4
	;; [unrolled: 1-line block ×4, first 2 shown]
	s_waitcnt lgkmcnt(0)
	v_pk_fma_f16 v4, v76, v2, 0
	v_pk_fma_f16 v4, v77, v3, v4
	;; [unrolled: 1-line block ×11, first 2 shown]
	v_add_co_u32_e32 v36, vcc, s2, v0
	v_pk_fma_f16 v4, v98, v42, v4
	v_pk_fma_f16 v2, v104, v3, v2
	v_addc_co_u32_e32 v37, vcc, v1, v91, vcc
	v_pk_fma_f16 v87, v99, v43, v4
	v_pk_fma_f16 v4, v105, v42, v2
	ds_read2_b32 v[40:41], v66 offset0:132 offset1:133
	ds_read2_b32 v[38:39], v66 offset0:134 offset1:135
	global_load_dwordx4 v[0:3], v[36:37], off
	v_pk_fma_f16 v117, v106, v43, v4
	ds_read2_b32 v[42:43], v66 offset0:196 offset1:197
	s_waitcnt lgkmcnt(2)
	v_pk_fma_f16 v4, v76, v40, 0
	v_pk_fma_f16 v4, v77, v41, v4
	s_waitcnt lgkmcnt(1)
	v_pk_fma_f16 v4, v83, v38, v4
	v_pk_fma_f16 v110, v84, v39, v4
	v_pk_fma_f16 v4, v92, v40, 0
	v_pk_fma_f16 v4, v93, v41, v4
	v_pk_fma_f16 v4, v94, v38, v4
	v_pk_fma_f16 v111, v95, v39, v4
	v_pk_fma_f16 v4, v96, v40, 0
	v_pk_fma_f16 v4, v97, v41, v4
	v_pk_fma_f16 v4, v98, v38, v4
	v_pk_fma_f16 v40, v100, v40, 0
	v_pk_fma_f16 v101, v99, v39, v4
	v_pk_fma_f16 v4, v104, v41, v40
	ds_read2_b32 v[40:41], v66 offset0:198 offset1:199
	v_pk_fma_f16 v4, v105, v38, v4
	v_pk_fma_f16 v38, v106, v39, v4
	s_waitcnt lgkmcnt(1)
	v_pk_fma_f16 v4, v76, v42, 0
	v_pk_fma_f16 v4, v77, v43, v4
	s_waitcnt lgkmcnt(0)
	v_pk_fma_f16 v4, v83, v40, v4
	v_pk_fma_f16 v54, v84, v41, v4
	v_pk_fma_f16 v4, v92, v42, 0
	v_pk_fma_f16 v4, v93, v43, v4
	v_pk_fma_f16 v4, v94, v40, v4
	v_pk_fma_f16 v88, v95, v41, v4
	v_pk_fma_f16 v4, v96, v42, 0
	v_pk_fma_f16 v4, v97, v43, v4
	v_pk_fma_f16 v4, v98, v40, v4
	s_add_i32 s11, s4, 0x410
	v_pk_fma_f16 v79, v99, v41, v4
	v_pk_fma_f16 v4, v100, v42, 0
	v_mov_b32_e32 v5, s11
	v_pk_fma_f16 v4, v104, v43, v4
	ds_read2_b32 v[42:43], v5 offset1:1
	s_add_i32 s11, s4, 0x418
	v_mov_b32_e32 v5, s11
	ds_read2_b32 v[108:109], v5 offset1:1
	v_pk_fma_f16 v4, v105, v40, v4
	v_pk_fma_f16 v80, v106, v41, v4
	s_waitcnt lgkmcnt(1)
	v_pk_fma_f16 v4, v76, v42, 0
	v_pk_fma_f16 v4, v77, v43, v4
	s_waitcnt lgkmcnt(0)
	v_pk_fma_f16 v4, v83, v108, v4
	v_pk_fma_f16 v74, v84, v109, v4
	;; [unrolled: 1-line block ×5, first 2 shown]
	s_add_i32 s11, s4, 0x510
	v_pk_fma_f16 v75, v95, v109, v4
	v_pk_fma_f16 v4, v96, v42, 0
	v_mov_b32_e32 v5, s11
	v_pk_fma_f16 v4, v97, v43, v4
	ds_read2_b32 v[112:113], v5 offset1:1
	s_add_i32 s11, s4, 0x518
	v_pk_fma_f16 v4, v98, v108, v4
	v_mov_b32_e32 v5, s11
	v_pk_fma_f16 v73, v99, v109, v4
	v_pk_fma_f16 v4, v100, v42, 0
	ds_read2_b32 v[122:123], v5 offset1:1
	v_pk_fma_f16 v4, v104, v43, v4
	v_pk_fma_f16 v4, v105, v108, v4
	;; [unrolled: 1-line block ×3, first 2 shown]
	s_waitcnt lgkmcnt(1)
	v_pk_fma_f16 v4, v76, v112, 0
	v_pk_fma_f16 v4, v77, v113, v4
	s_waitcnt lgkmcnt(0)
	v_pk_fma_f16 v4, v83, v122, v4
	v_pk_fma_f16 v42, v84, v123, v4
	;; [unrolled: 1-line block ×14, first 2 shown]
	s_waitcnt vmcnt(0)
	v_and_b32_e32 v4, 0xf000f, v0
	v_and_b32_e32 v5, 0xf000f0, v0
	v_lshrrev_b32_e32 v39, 8, v0
	v_and_b32_e32 v0, 0xf000f, v1
	v_or_b32_e32 v0, 0x64006400, v0
	v_pk_add_f16 v77, v47, v0
	v_and_b32_e32 v0, 0xf000f, v2
	v_and_b32_e32 v44, 0xf000f0, v1
	v_lshrrev_b32_e32 v76, 8, v1
	v_or_b32_e32 v0, 0x64006400, v0
	v_and_b32_e32 v1, 0xf000f0, v2
	v_or_b32_e32 v1, 0x64006400, v1
	v_pk_add_f16 v84, v48, v0
	v_and_b32_e32 v0, 0xf000f, v3
	v_lshrrev_b32_e32 v83, 8, v2
	v_pk_fma_f16 v92, v1, s9, v52 op_sel_hi:[1,0,1]
	v_or_b32_e32 v2, 0x64006400, v0
	ds_read2_b32 v[0:1], v66 offset0:8 offset1:9
	v_or_b32_e32 v4, 0x64006400, v4
	v_or_b32_e32 v5, 0x64006400, v5
	v_pk_add_f16 v4, v46, v4
	v_pk_fma_f16 v5, v5, s9, v50 op_sel_hi:[1,0,1]
	v_or_b32_e32 v44, 0x64006400, v44
	v_pk_add_f16 v95, v49, v2
	s_waitcnt lgkmcnt(0)
	v_pk_fma_f16 v2, v4, v0, 0
	v_pk_fma_f16 v44, v44, s9, v51 op_sel_hi:[1,0,1]
	v_pk_fma_f16 v96, v5, v1, v2
	v_pk_fma_f16 v2, v77, v0, 0
	v_and_b32_e32 v93, 0xf000f0, v3
	v_lshrrev_b32_e32 v94, 8, v3
	v_pk_fma_f16 v97, v44, v1, v2
	ds_read2_b32 v[2:3], v66 offset0:72 offset1:73
	v_or_b32_e32 v93, 0x64006400, v93
	v_pk_fma_f16 v93, v93, s9, v53 op_sel_hi:[1,0,1]
	v_pk_fma_f16 v98, v84, v0, 0
	v_pk_fma_f16 v0, v95, v0, 0
	;; [unrolled: 1-line block ×3, first 2 shown]
	s_waitcnt lgkmcnt(0)
	v_pk_fma_f16 v0, v4, v2, 0
	v_pk_fma_f16 v100, v5, v3, v0
	;; [unrolled: 1-line block ×5, first 2 shown]
	ds_read2_b32 v[0:1], v66 offset0:136 offset1:137
	v_pk_fma_f16 v105, v84, v2, 0
	v_pk_fma_f16 v2, v95, v2, 0
	;; [unrolled: 1-line block ×3, first 2 shown]
	s_add_i32 s11, s4, 0x420
	s_waitcnt lgkmcnt(0)
	v_pk_fma_f16 v2, v4, v0, 0
	v_pk_fma_f16 v107, v5, v1, v2
	;; [unrolled: 1-line block ×8, first 2 shown]
	ds_read2_b32 v[0:1], v66 offset0:200 offset1:201
	v_pk_fma_f16 v105, v92, v3, v105
	s_waitcnt lgkmcnt(0)
	v_pk_fma_f16 v2, v4, v0, 0
	v_pk_fma_f16 v113, v5, v1, v2
	;; [unrolled: 1-line block ×7, first 2 shown]
	v_mov_b32_e32 v0, s11
	v_pk_fma_f16 v45, v92, v1, v2
	ds_read2_b32 v[0:1], v0 offset1:1
	s_add_i32 s11, s4, 0x520
	s_waitcnt lgkmcnt(0)
	v_pk_fma_f16 v2, v4, v0, 0
	v_pk_fma_f16 v86, v5, v1, v2
	;; [unrolled: 1-line block ×7, first 2 shown]
	v_mov_b32_e32 v0, s11
	v_pk_fma_f16 v115, v92, v1, v2
	ds_read2_b32 v[0:1], v0 offset1:1
	s_add_i32 s11, s4, 0x428
	s_waitcnt lgkmcnt(0)
	v_pk_fma_f16 v2, v4, v0, 0
	v_pk_fma_f16 v4, v5, v1, v2
	;; [unrolled: 1-line block ×8, first 2 shown]
	v_and_b32_e32 v0, 0xf000f, v39
	v_and_b32_e32 v1, 0xf000f0, v39
	v_or_b32_e32 v0, 0x64006400, v0
	v_or_b32_e32 v1, 0x64006400, v1
	v_pk_add_f16 v84, v46, v0
	v_pk_fma_f16 v92, v1, s9, v50 op_sel_hi:[1,0,1]
	v_and_b32_e32 v0, 0xf000f, v76
	v_and_b32_e32 v1, 0xf000f0, v76
	v_or_b32_e32 v0, 0x64006400, v0
	v_or_b32_e32 v1, 0x64006400, v1
	v_pk_add_f16 v93, v47, v0
	v_pk_fma_f16 v95, v1, s9, v51 op_sel_hi:[1,0,1]
	;; [unrolled: 6-line block ×4, first 2 shown]
	ds_read2_b32 v[0:1], v66 offset0:10 offset1:11
	s_waitcnt lgkmcnt(0)
	v_pk_fma_f16 v2, v84, v0, v96
	v_pk_fma_f16 v96, v92, v1, v2
	v_pk_fma_f16 v2, v93, v0, v97
	v_pk_fma_f16 v97, v95, v1, v2
	v_pk_fma_f16 v2, v83, v0, v98
	v_pk_fma_f16 v0, v13, v0, v99
	v_pk_fma_f16 v2, v12, v1, v2
	v_pk_fma_f16 v3, v94, v1, v0
	ds_read2_b32 v[0:1], v66 offset0:74 offset1:75
	s_waitcnt lgkmcnt(0)
	v_pk_fma_f16 v39, v84, v0, v100
	v_pk_fma_f16 v127, v92, v1, v39
	v_pk_fma_f16 v39, v93, v0, v104
	v_pk_fma_f16 v44, v95, v1, v39
	v_pk_fma_f16 v39, v83, v0, v105
	v_pk_fma_f16 v0, v13, v0, v106
	v_pk_fma_f16 v125, v12, v1, v39
	v_pk_fma_f16 v126, v94, v1, v0
	;; [unrolled: 10-line block ×3, first 2 shown]
	ds_read2_b32 v[0:1], v66 offset0:202 offset1:203
	ds_read2_b32 v[108:109], v66 offset0:12 offset1:13
	s_waitcnt lgkmcnt(1)
	v_pk_fma_f16 v76, v84, v0, v113
	v_pk_fma_f16 v98, v93, v0, v116
	;; [unrolled: 1-line block ×5, first 2 shown]
	v_mov_b32_e32 v0, s11
	v_pk_fma_f16 v76, v92, v1, v76
	v_pk_fma_f16 v116, v95, v1, v98
	v_pk_fma_f16 v112, v12, v1, v45
	ds_read2_b32 v[0:1], v0 offset1:1
	s_add_i32 s11, s4, 0x528
	s_waitcnt lgkmcnt(0)
	v_pk_fma_f16 v8, v84, v0, v86
	v_pk_fma_f16 v99, v92, v1, v8
	;; [unrolled: 1-line block ×7, first 2 shown]
	v_mov_b32_e32 v0, s11
	v_pk_fma_f16 v86, v12, v1, v8
	ds_read2_b32 v[0:1], v0 offset1:1
	s_add_i32 s11, s4, 0x430
	s_waitcnt lgkmcnt(0)
	v_pk_fma_f16 v4, v84, v0, v4
	v_pk_fma_f16 v10, v92, v1, v4
	;; [unrolled: 1-line block ×7, first 2 shown]
	v_add_co_u32_e32 v0, vcc, s2, v36
	v_pk_fma_f16 v45, v12, v1, v4
	v_addc_co_u32_e32 v1, vcc, v37, v91, vcc
	global_load_dwordx4 v[92:95], v[0:1], off
	v_cvt_f32_f16_e32 v1, v90
	v_cvt_f32_f16_e32 v0, v89
	v_cvt_f32_f16_sdwa v91, v90 dst_sel:DWORD dst_unused:UNUSED_PAD src0_sel:WORD_1
	v_cvt_f32_f16_sdwa v90, v89 dst_sel:DWORD dst_unused:UNUSED_PAD src0_sel:WORD_1
	v_add_co_u32_e32 v16, vcc, s0, v16
	v_pk_add_f32 v[0:1], v[0:1], v[90:91]
	v_pk_fma_f32 v[0:1], v[0:1], v[20:21], v[32:33]
	v_cvt_f32_f16_e32 v33, v103
	v_cvt_f32_f16_e32 v32, v102
	v_cvt_f32_f16_sdwa v91, v103 dst_sel:DWORD dst_unused:UNUSED_PAD src0_sel:WORD_1
	v_cvt_f32_f16_sdwa v90, v102 dst_sel:DWORD dst_unused:UNUSED_PAD src0_sel:WORD_1
	v_pk_add_f32 v[32:33], v[32:33], v[90:91]
	v_pk_fma_f32 v[0:1], v[32:33], v[20:21], v[0:1]
	v_cvt_f32_f16_e32 v33, v97
	v_cvt_f32_f16_e32 v32, v96
	v_cvt_f32_f16_sdwa v91, v97 dst_sel:DWORD dst_unused:UNUSED_PAD src0_sel:WORD_1
	v_cvt_f32_f16_sdwa v90, v96 dst_sel:DWORD dst_unused:UNUSED_PAD src0_sel:WORD_1
	v_pk_add_f32 v[32:33], v[32:33], v[90:91]
	v_pk_fma_f32 v[0:1], v[32:33], v[20:21], v[0:1]
	s_waitcnt vmcnt(0)
	v_lshrrev_b32_e32 v8, 8, v92
	v_and_b32_e32 v4, 0xf000f, v92
	v_and_b32_e32 v32, 0xf000f, v8
	v_and_b32_e32 v8, 0xf000f0, v8
	v_and_b32_e32 v5, 0xf000f0, v92
	v_and_b32_e32 v11, 0xf000f, v93
	v_lshrrev_b32_e32 v13, 8, v93
	v_or_b32_e32 v4, 0x64006400, v4
	v_or_b32_e32 v8, 0x64006400, v8
	v_and_b32_e32 v12, 0xf000f0, v93
	v_or_b32_e32 v5, 0x64006400, v5
	v_pk_add_f16 v90, v46, v4
	v_pk_fma_f16 v93, v8, s9, v50 op_sel_hi:[1,0,1]
	v_or_b32_e32 v4, 0x64006400, v11
	v_and_b32_e32 v8, 0xf000f, v13
	v_and_b32_e32 v104, 0xf000f, v94
	v_and_b32_e32 v107, 0xf000f0, v94
	v_lshrrev_b32_e32 v37, 8, v94
	v_pk_fma_f16 v91, v5, s9, v50 op_sel_hi:[1,0,1]
	v_or_b32_e32 v5, 0x64006400, v12
	v_or_b32_e32 v8, 0x64006400, v8
	v_pk_add_f16 v94, v47, v4
	v_pk_fma_f16 v4, v90, v108, 0
	v_and_b32_e32 v105, 0xf000f, v95
	v_and_b32_e32 v106, 0xf000f0, v95
	v_lshrrev_b32_e32 v36, 8, v95
	v_pk_fma_f16 v95, v5, s9, v51 op_sel_hi:[1,0,1]
	v_pk_add_f16 v96, v47, v8
	v_pk_fma_f16 v8, v91, v109, v4
	ds_read2_b32 v[4:5], v66 offset0:14 offset1:15
	v_and_b32_e32 v11, 0xf000f0, v13
	v_or_b32_e32 v11, 0x64006400, v11
	v_or_b32_e32 v32, 0x64006400, v32
	v_pk_fma_f16 v89, v11, s9, v51 op_sel_hi:[1,0,1]
	v_pk_fma_f16 v11, v94, v108, 0
	v_pk_add_f16 v92, v46, v32
	v_pk_fma_f16 v11, v95, v109, v11
	s_waitcnt lgkmcnt(0)
	v_pk_fma_f16 v8, v92, v4, v8
	v_pk_fma_f16 v11, v96, v4, v11
	;; [unrolled: 1-line block ×4, first 2 shown]
	v_cvt_f32_f16_e32 v33, v11
	v_cvt_f32_f16_e32 v32, v8
	v_cvt_f32_f16_sdwa v103, v11 dst_sel:DWORD dst_unused:UNUSED_PAD src0_sel:WORD_1
	v_cvt_f32_f16_sdwa v102, v8 dst_sel:DWORD dst_unused:UNUSED_PAD src0_sel:WORD_1
	v_and_b32_e32 v8, 0xf000f, v37
	v_or_b32_e32 v8, 0x64006400, v8
	v_and_b32_e32 v11, 0xf000f0, v37
	v_pk_add_f32 v[32:33], v[32:33], v[102:103]
	v_pk_fma_f32 v[32:33], v[32:33], v[20:21], v[0:1]
	v_or_b32_e32 v0, 0x64006400, v104
	v_or_b32_e32 v1, 0x64006400, v107
	v_pk_add_f16 v103, v48, v0
	v_or_b32_e32 v0, 0x64006400, v105
	v_pk_fma_f16 v104, v1, s9, v52 op_sel_hi:[1,0,1]
	v_or_b32_e32 v1, 0x64006400, v106
	v_pk_add_f16 v105, v49, v0
	v_pk_fma_f16 v0, v103, v108, 0
	v_or_b32_e32 v11, 0x64006400, v11
	v_pk_add_f16 v107, v48, v8
	v_and_b32_e32 v8, 0xf000f, v36
	v_pk_fma_f16 v106, v1, s9, v53 op_sel_hi:[1,0,1]
	v_pk_fma_f16 v0, v104, v109, v0
	v_pk_fma_f16 v1, v105, v108, 0
	v_pk_fma_f16 v108, v11, s9, v52 op_sel_hi:[1,0,1]
	v_or_b32_e32 v8, 0x64006400, v8
	v_and_b32_e32 v11, 0xf000f0, v36
	v_pk_fma_f16 v1, v106, v109, v1
	v_or_b32_e32 v11, 0x64006400, v11
	v_pk_add_f16 v109, v49, v8
	v_pk_fma_f16 v0, v107, v4, v0
	v_pk_fma_f16 v102, v11, s9, v53 op_sel_hi:[1,0,1]
	v_pk_fma_f16 v8, v108, v5, v0
	v_pk_fma_f16 v0, v109, v4, v1
	;; [unrolled: 1-line block ×3, first 2 shown]
	v_cvt_f32_f16_e32 v1, v9
	v_cvt_f32_f16_e32 v0, v85
	v_cvt_f32_f16_sdwa v5, v9 dst_sel:DWORD dst_unused:UNUSED_PAD src0_sel:WORD_1
	v_cvt_f32_f16_sdwa v4, v85 dst_sel:DWORD dst_unused:UNUSED_PAD src0_sel:WORD_1
	;; [unrolled: 1-line block ×4, first 2 shown]
	v_pk_add_f32 v[0:1], v[0:1], v[4:5]
	v_pk_fma_f32 v[0:1], v[0:1], v[22:23], v[24:25]
	v_cvt_f32_f16_e32 v5, v121
	v_cvt_f32_f16_e32 v4, v118
	v_cvt_f32_f16_sdwa v25, v121 dst_sel:DWORD dst_unused:UNUSED_PAD src0_sel:WORD_1
	v_cvt_f32_f16_sdwa v24, v118 dst_sel:DWORD dst_unused:UNUSED_PAD src0_sel:WORD_1
	v_pk_add_f32 v[4:5], v[4:5], v[24:25]
	v_pk_fma_f32 v[0:1], v[4:5], v[22:23], v[0:1]
	v_cvt_f32_f16_e32 v5, v3
	v_cvt_f32_f16_e32 v4, v2
	v_cvt_f32_f16_sdwa v3, v3 dst_sel:DWORD dst_unused:UNUSED_PAD src0_sel:WORD_1
	v_cvt_f32_f16_sdwa v2, v2 dst_sel:DWORD dst_unused:UNUSED_PAD src0_sel:WORD_1
	;; [unrolled: 6-line block ×4, first 2 shown]
	v_cvt_f32_f16_e32 v5, v120
	v_cvt_f32_f16_e32 v4, v119
	ds_read2_b32 v[118:119], v66 offset0:78 offset1:79
	v_pk_add_f32 v[0:1], v[0:1], v[2:3]
	v_pk_fma_f32 v[2:3], v[0:1], v[20:21], v[30:31]
	v_pk_add_f32 v[30:31], v[4:5], v[36:37]
	ds_read2_b32 v[4:5], v66 offset0:76 offset1:77
	v_cvt_f32_f16_e32 v1, v44
	v_cvt_f32_f16_e32 v0, v127
	v_cvt_f32_f16_sdwa v37, v44 dst_sel:DWORD dst_unused:UNUSED_PAD src0_sel:WORD_1
	v_cvt_f32_f16_sdwa v36, v127 dst_sel:DWORD dst_unused:UNUSED_PAD src0_sel:WORD_1
	s_waitcnt lgkmcnt(0)
	v_pk_fma_f16 v8, v90, v4, 0
	v_pk_fma_f16 v9, v94, v4, 0
	;; [unrolled: 1-line block ×6, first 2 shown]
	v_pk_fma_f32 v[2:3], v[30:31], v[20:21], v[2:3]
	v_pk_add_f32 v[0:1], v[0:1], v[36:37]
	v_pk_fma_f16 v8, v93, v119, v8
	v_pk_fma_f16 v9, v89, v119, v9
	v_pk_fma_f32 v[0:1], v[0:1], v[20:21], v[2:3]
	v_cvt_f32_f16_e32 v3, v9
	v_cvt_f32_f16_e32 v2, v8
	v_cvt_f32_f16_sdwa v31, v9 dst_sel:DWORD dst_unused:UNUSED_PAD src0_sel:WORD_1
	v_cvt_f32_f16_sdwa v30, v8 dst_sel:DWORD dst_unused:UNUSED_PAD src0_sel:WORD_1
	v_cvt_f32_f16_e32 v37, v126
	v_cvt_f32_f16_e32 v36, v125
	v_pk_add_f32 v[2:3], v[2:3], v[30:31]
	v_pk_fma_f32 v[30:31], v[2:3], v[20:21], v[0:1]
	v_pk_fma_f16 v0, v103, v4, 0
	v_pk_fma_f16 v0, v104, v5, v0
	;; [unrolled: 1-line block ×4, first 2 shown]
	v_cvt_f32_f16_e32 v1, v72
	v_cvt_f32_f16_e32 v0, v71
	v_cvt_f32_f16_sdwa v3, v72 dst_sel:DWORD dst_unused:UNUSED_PAD src0_sel:WORD_1
	v_cvt_f32_f16_sdwa v2, v71 dst_sel:DWORD dst_unused:UNUSED_PAD src0_sel:WORD_1
	v_pk_fma_f16 v4, v105, v4, 0
	v_pk_fma_f16 v4, v106, v5, v4
	;; [unrolled: 1-line block ×4, first 2 shown]
	v_pk_add_f32 v[0:1], v[0:1], v[2:3]
	v_cvt_f32_f16_e32 v3, v117
	v_cvt_f32_f16_e32 v2, v87
	v_cvt_f32_f16_sdwa v5, v117 dst_sel:DWORD dst_unused:UNUSED_PAD src0_sel:WORD_1
	v_cvt_f32_f16_sdwa v4, v87 dst_sel:DWORD dst_unused:UNUSED_PAD src0_sel:WORD_1
	;; [unrolled: 1-line block ×4, first 2 shown]
	v_pk_fma_f32 v[0:1], v[0:1], v[22:23], v[28:29]
	v_pk_add_f32 v[2:3], v[2:3], v[4:5]
	v_pk_fma_f32 v[28:29], v[2:3], v[22:23], v[0:1]
	v_cvt_f32_f16_e32 v1, v9
	v_cvt_f32_f16_e32 v0, v8
	v_cvt_f32_f16_sdwa v3, v9 dst_sel:DWORD dst_unused:UNUSED_PAD src0_sel:WORD_1
	v_cvt_f32_f16_sdwa v2, v8 dst_sel:DWORD dst_unused:UNUSED_PAD src0_sel:WORD_1
	ds_read2_b32 v[4:5], v66 offset0:140 offset1:141
	v_pk_add_f32 v[36:37], v[36:37], v[118:119]
	v_pk_fma_f32 v[28:29], v[36:37], v[22:23], v[28:29]
	ds_read2_b32 v[36:37], v66 offset0:142 offset1:143
	v_pk_add_f32 v[0:1], v[0:1], v[2:3]
	v_pk_fma_f32 v[28:29], v[0:1], v[22:23], v[28:29]
	s_waitcnt lgkmcnt(1)
	v_pk_fma_f16 v0, v90, v4, 0
	v_pk_fma_f16 v0, v91, v5, v0
	s_waitcnt lgkmcnt(0)
	v_pk_fma_f16 v0, v92, v36, v0
	v_pk_fma_f16 v8, v93, v37, v0
	;; [unrolled: 1-line block ×5, first 2 shown]
	v_cvt_f32_f16_e32 v1, v70
	v_cvt_f32_f16_e32 v0, v69
	v_cvt_f32_f16_sdwa v3, v70 dst_sel:DWORD dst_unused:UNUSED_PAD src0_sel:WORD_1
	v_cvt_f32_f16_sdwa v2, v69 dst_sel:DWORD dst_unused:UNUSED_PAD src0_sel:WORD_1
	v_cvt_f32_f16_e32 v71, v111
	v_cvt_f32_f16_e32 v70, v110
	v_cvt_f32_f16_sdwa v111, v111 dst_sel:DWORD dst_unused:UNUSED_PAD src0_sel:WORD_1
	v_cvt_f32_f16_sdwa v110, v110 dst_sel:DWORD dst_unused:UNUSED_PAD src0_sel:WORD_1
	v_pk_add_f32 v[0:1], v[0:1], v[2:3]
	v_pk_fma_f16 v9, v89, v37, v9
	v_pk_fma_f32 v[0:1], v[0:1], v[20:21], v[18:19]
	v_pk_add_f32 v[2:3], v[70:71], v[110:111]
	v_cvt_f32_f16_e32 v19, v124
	v_cvt_f32_f16_e32 v18, v123
	v_cvt_f32_f16_sdwa v71, v124 dst_sel:DWORD dst_unused:UNUSED_PAD src0_sel:WORD_1
	v_cvt_f32_f16_sdwa v70, v123 dst_sel:DWORD dst_unused:UNUSED_PAD src0_sel:WORD_1
	v_cvt_f32_f16_e32 v111, v9
	v_cvt_f32_f16_e32 v110, v8
	v_cvt_f32_f16_sdwa v119, v9 dst_sel:DWORD dst_unused:UNUSED_PAD src0_sel:WORD_1
	v_cvt_f32_f16_sdwa v118, v8 dst_sel:DWORD dst_unused:UNUSED_PAD src0_sel:WORD_1
	v_pk_fma_f32 v[0:1], v[2:3], v[20:21], v[0:1]
	v_pk_add_f32 v[2:3], v[18:19], v[70:71]
	v_pk_fma_f32 v[0:1], v[2:3], v[20:21], v[0:1]
	v_pk_add_f32 v[2:3], v[110:111], v[118:119]
	v_pk_fma_f32 v[18:19], v[2:3], v[20:21], v[0:1]
	v_pk_fma_f16 v0, v103, v4, 0
	v_pk_fma_f16 v0, v104, v5, v0
	;; [unrolled: 1-line block ×4, first 2 shown]
	v_cvt_f32_f16_e32 v1, v68
	v_cvt_f32_f16_e32 v0, v67
	v_cvt_f32_f16_sdwa v3, v68 dst_sel:DWORD dst_unused:UNUSED_PAD src0_sel:WORD_1
	v_cvt_f32_f16_sdwa v2, v67 dst_sel:DWORD dst_unused:UNUSED_PAD src0_sel:WORD_1
	v_pk_fma_f16 v4, v105, v4, 0
	v_pk_fma_f16 v4, v106, v5, v4
	;; [unrolled: 1-line block ×4, first 2 shown]
	v_pk_add_f32 v[0:1], v[0:1], v[2:3]
	v_cvt_f32_f16_e32 v3, v38
	v_cvt_f32_f16_e32 v2, v101
	v_cvt_f32_f16_sdwa v5, v38 dst_sel:DWORD dst_unused:UNUSED_PAD src0_sel:WORD_1
	v_cvt_f32_f16_sdwa v4, v101 dst_sel:DWORD dst_unused:UNUSED_PAD src0_sel:WORD_1
	v_cvt_f32_f16_e32 v37, v122
	v_cvt_f32_f16_e32 v36, v39
	v_cvt_f32_f16_sdwa v69, v122 dst_sel:DWORD dst_unused:UNUSED_PAD src0_sel:WORD_1
	v_cvt_f32_f16_sdwa v68, v39 dst_sel:DWORD dst_unused:UNUSED_PAD src0_sel:WORD_1
	v_pk_fma_f32 v[0:1], v[0:1], v[22:23], v[34:35]
	v_pk_add_f32 v[2:3], v[2:3], v[4:5]
	v_pk_fma_f32 v[2:3], v[2:3], v[22:23], v[0:1]
	v_pk_add_f32 v[38:39], v[36:37], v[68:69]
	ds_read2_b32 v[0:1], v66 offset0:204 offset1:205
	v_pk_fma_f32 v[38:39], v[38:39], v[22:23], v[2:3]
	ds_read2_b32 v[2:3], v66 offset0:206 offset1:207
	buffer_load_dword v12, off, s[28:31], 0 offset:16 ; 4-byte Folded Reload
	buffer_load_dword v13, off, s[28:31], 0 offset:20 ; 4-byte Folded Reload
	v_cvt_f32_f16_e32 v35, v9
	v_cvt_f32_f16_e32 v34, v8
	v_cvt_f32_f16_sdwa v37, v9 dst_sel:DWORD dst_unused:UNUSED_PAD src0_sel:WORD_1
	v_cvt_f32_f16_sdwa v36, v8 dst_sel:DWORD dst_unused:UNUSED_PAD src0_sel:WORD_1
	;; [unrolled: 1-line block ×4, first 2 shown]
	v_pk_add_f32 v[4:5], v[34:35], v[36:37]
	v_pk_fma_f32 v[34:35], v[4:5], v[22:23], v[38:39]
	s_waitcnt lgkmcnt(1)
	v_pk_fma_f16 v4, v90, v0, 0
	v_pk_fma_f16 v4, v91, v1, v4
	s_waitcnt lgkmcnt(0)
	v_pk_fma_f16 v4, v92, v2, v4
	v_pk_fma_f16 v36, v93, v3, v4
	;; [unrolled: 1-line block ×5, first 2 shown]
	v_cvt_f32_f16_e32 v5, v65
	v_cvt_f32_f16_e32 v4, v64
	v_cvt_f32_f16_sdwa v39, v65 dst_sel:DWORD dst_unused:UNUSED_PAD src0_sel:WORD_1
	v_cvt_f32_f16_sdwa v38, v64 dst_sel:DWORD dst_unused:UNUSED_PAD src0_sel:WORD_1
	v_cvt_f32_f16_e32 v65, v88
	v_cvt_f32_f16_e32 v64, v54
	v_pk_fma_f16 v8, v89, v3, v37
	v_pk_add_f32 v[4:5], v[4:5], v[38:39]
	v_pk_fma_f32 v[4:5], v[4:5], v[20:21], v[14:15]
	v_pk_add_f32 v[14:15], v[64:65], v[66:67]
	v_cvt_f32_f16_e32 v39, v116
	v_cvt_f32_f16_e32 v38, v76
	v_cvt_f32_f16_sdwa v65, v116 dst_sel:DWORD dst_unused:UNUSED_PAD src0_sel:WORD_1
	v_cvt_f32_f16_sdwa v64, v76 dst_sel:DWORD dst_unused:UNUSED_PAD src0_sel:WORD_1
	v_cvt_f32_f16_e32 v67, v8
	v_cvt_f32_f16_e32 v66, v36
	v_cvt_f32_f16_sdwa v37, v8 dst_sel:DWORD dst_unused:UNUSED_PAD src0_sel:WORD_1
	v_cvt_f32_f16_sdwa v36, v36 dst_sel:DWORD dst_unused:UNUSED_PAD src0_sel:WORD_1
	v_pk_fma_f32 v[4:5], v[14:15], v[20:21], v[4:5]
	v_pk_add_f32 v[14:15], v[38:39], v[64:65]
	v_pk_fma_f32 v[4:5], v[14:15], v[20:21], v[4:5]
	v_pk_add_f32 v[14:15], v[66:67], v[36:37]
	v_pk_fma_f32 v[14:15], v[14:15], v[20:21], v[4:5]
	v_pk_fma_f16 v4, v103, v0, 0
	v_pk_fma_f16 v4, v104, v1, v4
	;; [unrolled: 1-line block ×4, first 2 shown]
	v_cvt_f32_f16_e32 v5, v63
	v_cvt_f32_f16_e32 v4, v62
	v_cvt_f32_f16_sdwa v37, v63 dst_sel:DWORD dst_unused:UNUSED_PAD src0_sel:WORD_1
	v_cvt_f32_f16_sdwa v36, v62 dst_sel:DWORD dst_unused:UNUSED_PAD src0_sel:WORD_1
	v_pk_fma_f16 v0, v105, v0, 0
	v_pk_fma_f16 v0, v106, v1, v0
	;; [unrolled: 1-line block ×4, first 2 shown]
	v_pk_add_f32 v[0:1], v[4:5], v[36:37]
	v_cvt_f32_f16_e32 v3, v80
	v_cvt_f32_f16_e32 v2, v79
	v_cvt_f32_f16_sdwa v5, v80 dst_sel:DWORD dst_unused:UNUSED_PAD src0_sel:WORD_1
	v_cvt_f32_f16_sdwa v4, v79 dst_sel:DWORD dst_unused:UNUSED_PAD src0_sel:WORD_1
	v_cvt_f32_f16_e32 v37, v113
	v_cvt_f32_f16_e32 v36, v112
	v_cvt_f32_f16_sdwa v39, v113 dst_sel:DWORD dst_unused:UNUSED_PAD src0_sel:WORD_1
	v_cvt_f32_f16_sdwa v38, v112 dst_sel:DWORD dst_unused:UNUSED_PAD src0_sel:WORD_1
	v_pk_add_f32 v[2:3], v[2:3], v[4:5]
	v_cvt_f32_f16_sdwa v4, v8 dst_sel:DWORD dst_unused:UNUSED_PAD src0_sel:WORD_1
	v_cvt_f32_f16_sdwa v5, v9 dst_sel:DWORD dst_unused:UNUSED_PAD src0_sel:WORD_1
	s_waitcnt vmcnt(0)
	v_pk_fma_f32 v[0:1], v[0:1], v[22:23], v[12:13]
	v_pk_fma_f32 v[0:1], v[2:3], v[22:23], v[0:1]
	v_pk_add_f32 v[2:3], v[36:37], v[38:39]
	v_pk_fma_f32 v[0:1], v[2:3], v[22:23], v[0:1]
	v_cvt_f32_f16_e32 v2, v8
	v_mov_b32_e32 v8, s11
	v_cvt_f32_f16_e32 v3, v9
	ds_read2_b32 v[36:37], v8 offset1:1
	s_add_i32 s11, s4, 0x438
	v_mov_b32_e32 v8, s11
	ds_read2_b32 v[38:39], v8 offset1:1
	v_pk_add_f32 v[2:3], v[2:3], v[4:5]
	v_pk_fma_f32 v[64:65], v[2:3], v[22:23], v[0:1]
	s_waitcnt lgkmcnt(1)
	v_pk_fma_f16 v0, v90, v36, 0
	v_pk_fma_f16 v0, v91, v37, v0
	s_waitcnt lgkmcnt(0)
	v_pk_fma_f16 v0, v92, v38, v0
	v_pk_fma_f16 v11, v93, v39, v0
	;; [unrolled: 1-line block ×5, first 2 shown]
	v_cvt_f32_f16_e32 v1, v61
	v_cvt_f32_f16_e32 v0, v60
	v_cvt_f32_f16_sdwa v3, v61 dst_sel:DWORD dst_unused:UNUSED_PAD src0_sel:WORD_1
	v_cvt_f32_f16_sdwa v2, v60 dst_sel:DWORD dst_unused:UNUSED_PAD src0_sel:WORD_1
	v_cvt_f32_f16_e32 v5, v75
	v_cvt_f32_f16_e32 v4, v74
	v_cvt_f32_f16_sdwa v61, v75 dst_sel:DWORD dst_unused:UNUSED_PAD src0_sel:WORD_1
	v_pk_add_f32 v[0:1], v[0:1], v[2:3]
	buffer_load_dword v2, off, s[28:31], 0  ; 4-byte Folded Reload
	buffer_load_dword v3, off, s[28:31], 0 offset:4 ; 4-byte Folded Reload
	v_cvt_f32_f16_sdwa v60, v74 dst_sel:DWORD dst_unused:UNUSED_PAD src0_sel:WORD_1
	v_pk_fma_f16 v12, v89, v39, v8
	v_cvt_f32_f16_sdwa v9, v100 dst_sel:DWORD dst_unused:UNUSED_PAD src0_sel:WORD_1
	v_cvt_f32_f16_sdwa v8, v99 dst_sel:DWORD dst_unused:UNUSED_PAD src0_sel:WORD_1
	;; [unrolled: 1-line block ×4, first 2 shown]
	s_add_i32 s11, s4, 0x530
	s_waitcnt vmcnt(0)
	v_pk_fma_f32 v[0:1], v[0:1], v[20:21], v[2:3]
	v_pk_add_f32 v[2:3], v[4:5], v[60:61]
	v_cvt_f32_f16_e32 v5, v100
	v_cvt_f32_f16_e32 v4, v99
	;; [unrolled: 1-line block ×4, first 2 shown]
	v_pk_fma_f32 v[0:1], v[2:3], v[20:21], v[0:1]
	v_pk_add_f32 v[2:3], v[4:5], v[8:9]
	v_pk_fma_f32 v[0:1], v[2:3], v[20:21], v[0:1]
	v_pk_add_f32 v[2:3], v[60:61], v[62:63]
	v_pk_fma_f32 v[60:61], v[2:3], v[20:21], v[0:1]
	v_pk_fma_f16 v0, v103, v36, 0
	v_pk_fma_f16 v0, v104, v37, v0
	;; [unrolled: 1-line block ×4, first 2 shown]
	v_cvt_f32_f16_e32 v1, v59
	v_cvt_f32_f16_e32 v0, v58
	v_cvt_f32_f16_sdwa v3, v59 dst_sel:DWORD dst_unused:UNUSED_PAD src0_sel:WORD_1
	v_cvt_f32_f16_sdwa v2, v58 dst_sel:DWORD dst_unused:UNUSED_PAD src0_sel:WORD_1
	v_pk_fma_f16 v4, v105, v36, 0
	v_pk_fma_f16 v4, v106, v37, v4
	;; [unrolled: 1-line block ×4, first 2 shown]
	v_pk_add_f32 v[0:1], v[0:1], v[2:3]
	v_cvt_f32_f16_e32 v3, v78
	v_cvt_f32_f16_e32 v2, v73
	v_cvt_f32_f16_sdwa v5, v78 dst_sel:DWORD dst_unused:UNUSED_PAD src0_sel:WORD_1
	v_cvt_f32_f16_sdwa v4, v73 dst_sel:DWORD dst_unused:UNUSED_PAD src0_sel:WORD_1
	v_cvt_f32_f16_e32 v37, v98
	v_cvt_f32_f16_e32 v36, v86
	v_cvt_f32_f16_sdwa v39, v98 dst_sel:DWORD dst_unused:UNUSED_PAD src0_sel:WORD_1
	v_cvt_f32_f16_sdwa v38, v86 dst_sel:DWORD dst_unused:UNUSED_PAD src0_sel:WORD_1
	v_pk_fma_f32 v[0:1], v[0:1], v[22:23], v[26:27]
	v_pk_add_f32 v[2:3], v[2:3], v[4:5]
	v_pk_fma_f32 v[0:1], v[2:3], v[22:23], v[0:1]
	v_pk_add_f32 v[2:3], v[36:37], v[38:39]
	v_mov_b32_e32 v4, s11
	v_pk_fma_f32 v[0:1], v[2:3], v[22:23], v[0:1]
	v_cvt_f32_f16_e32 v3, v9
	v_cvt_f32_f16_e32 v2, v8
	v_cvt_f32_f16_sdwa v27, v9 dst_sel:DWORD dst_unused:UNUSED_PAD src0_sel:WORD_1
	v_cvt_f32_f16_sdwa v26, v8 dst_sel:DWORD dst_unused:UNUSED_PAD src0_sel:WORD_1
	ds_read2_b32 v[38:39], v4 offset1:1
	s_add_i32 s11, s4, 0x538
	v_mov_b32_e32 v4, s11
	ds_read2_b32 v[36:37], v4 offset1:1
	v_pk_add_f32 v[2:3], v[2:3], v[26:27]
	v_pk_fma_f32 v[26:27], v[2:3], v[22:23], v[0:1]
	s_waitcnt lgkmcnt(1)
	v_pk_fma_f16 v0, v90, v38, 0
	v_pk_fma_f16 v0, v91, v39, v0
	s_waitcnt lgkmcnt(0)
	v_pk_fma_f16 v0, v92, v36, v0
	v_pk_fma_f16 v8, v93, v37, v0
	;; [unrolled: 1-line block ×5, first 2 shown]
	v_cvt_f32_f16_e32 v1, v57
	v_cvt_f32_f16_e32 v0, v56
	v_cvt_f32_f16_sdwa v3, v57 dst_sel:DWORD dst_unused:UNUSED_PAD src0_sel:WORD_1
	v_cvt_f32_f16_sdwa v2, v56 dst_sel:DWORD dst_unused:UNUSED_PAD src0_sel:WORD_1
	v_cvt_f32_f16_e32 v5, v43
	v_cvt_f32_f16_e32 v4, v42
	v_cvt_f32_f16_sdwa v43, v43 dst_sel:DWORD dst_unused:UNUSED_PAD src0_sel:WORD_1
	v_pk_add_f32 v[0:1], v[0:1], v[2:3]
	buffer_load_dword v2, off, s[28:31], 0 offset:8 ; 4-byte Folded Reload
	buffer_load_dword v3, off, s[28:31], 0 offset:12 ; 4-byte Folded Reload
	v_cvt_f32_f16_sdwa v42, v42 dst_sel:DWORD dst_unused:UNUSED_PAD src0_sel:WORD_1
	v_pk_fma_f16 v9, v89, v37, v9
	v_cvt_f32_f16_sdwa v11, v84 dst_sel:DWORD dst_unused:UNUSED_PAD src0_sel:WORD_1
	v_cvt_f32_f16_sdwa v57, v9 dst_sel:DWORD dst_unused:UNUSED_PAD src0_sel:WORD_1
	;; [unrolled: 1-line block ×3, first 2 shown]
	s_add_i32 s4, s4, 64
	s_cmp_ge_i32 s24, s25
	s_waitcnt vmcnt(0)
	v_pk_fma_f32 v[0:1], v[0:1], v[20:21], v[2:3]
	v_pk_add_f32 v[2:3], v[4:5], v[42:43]
	v_cvt_f32_f16_e32 v5, v84
	v_cvt_f32_f16_e32 v4, v10
	v_cvt_f32_f16_sdwa v10, v10 dst_sel:DWORD dst_unused:UNUSED_PAD src0_sel:WORD_1
	v_cvt_f32_f16_e32 v43, v9
	v_cvt_f32_f16_e32 v42, v8
	v_pk_fma_f32 v[0:1], v[2:3], v[20:21], v[0:1]
	v_pk_add_f32 v[2:3], v[4:5], v[10:11]
	v_pk_fma_f32 v[0:1], v[2:3], v[20:21], v[0:1]
	v_pk_add_f32 v[2:3], v[42:43], v[56:57]
	v_pk_fma_f32 v[42:43], v[2:3], v[20:21], v[0:1]
	buffer_load_dword v2, off, s[28:31], 0 offset:24 ; 4-byte Folded Reload
	v_pk_fma_f16 v0, v103, v38, 0
	v_pk_fma_f16 v0, v104, v39, v0
	;; [unrolled: 1-line block ×7, first 2 shown]
	v_cvt_f32_f16_e32 v1, v55
	v_cvt_f32_f16_sdwa v3, v55 dst_sel:DWORD dst_unused:UNUSED_PAD src0_sel:WORD_1
	v_cvt_f32_f16_e32 v5, v41
	v_cvt_f32_f16_e32 v4, v40
	v_cvt_f32_f16_sdwa v39, v41 dst_sel:DWORD dst_unused:UNUSED_PAD src0_sel:WORD_1
	v_cvt_f32_f16_sdwa v38, v40 dst_sel:DWORD dst_unused:UNUSED_PAD src0_sel:WORD_1
	v_pk_fma_f16 v9, v102, v37, v9
	v_cvt_f32_f16_e32 v37, v9
	v_cvt_f32_f16_e32 v36, v8
	s_waitcnt vmcnt(0)
	v_cvt_f32_f16_e32 v0, v2
	v_cvt_f32_f16_sdwa v2, v2 dst_sel:DWORD dst_unused:UNUSED_PAD src0_sel:WORD_1
	v_pk_add_f32 v[0:1], v[0:1], v[2:3]
	v_pk_fma_f32 v[0:1], v[0:1], v[22:23], v[6:7]
	v_pk_add_f32 v[2:3], v[4:5], v[38:39]
	v_cvt_f32_f16_e32 v5, v77
	v_cvt_f32_f16_e32 v4, v45
	v_cvt_f32_f16_sdwa v7, v77 dst_sel:DWORD dst_unused:UNUSED_PAD src0_sel:WORD_1
	v_cvt_f32_f16_sdwa v6, v45 dst_sel:DWORD dst_unused:UNUSED_PAD src0_sel:WORD_1
	;; [unrolled: 1-line block ×4, first 2 shown]
	v_pk_fma_f32 v[0:1], v[2:3], v[22:23], v[0:1]
	v_pk_add_f32 v[2:3], v[4:5], v[6:7]
	v_pk_fma_f32 v[0:1], v[2:3], v[22:23], v[0:1]
	v_pk_add_f32 v[2:3], v[36:37], v[38:39]
	v_pk_fma_f32 v[6:7], v[2:3], v[22:23], v[0:1]
	v_mov_b32_e32 v0, s1
	v_addc_co_u32_e32 v17, vcc, v17, v0, vcc
	s_cbranch_scc1 .LBB37_20
.LBB37_18:                              ; =>This Inner Loop Header: Depth=1
	s_cmp_lg_u32 s24, s10
	buffer_store_dword v60, off, s[28:31], 0 ; 4-byte Folded Spill
	s_nop 0
	buffer_store_dword v61, off, s[28:31], 0 offset:4 ; 4-byte Folded Spill
	buffer_store_dword v42, off, s[28:31], 0 offset:8 ; 4-byte Folded Spill
	s_nop 0
	buffer_store_dword v43, off, s[28:31], 0 offset:12 ; 4-byte Folded Spill
	buffer_store_dword v64, off, s[28:31], 0 offset:16 ; 4-byte Folded Spill
	s_nop 0
	buffer_store_dword v65, off, s[28:31], 0 offset:20 ; 4-byte Folded Spill
	s_cbranch_scc1 .LBB37_17
; %bb.19:                               ;   in Loop: Header=BB37_18 Depth=1
	buffer_load_dword v0, off, s[28:31], 0 offset:36 ; 4-byte Folded Reload
	buffer_load_dword v2, off, s[28:31], 0 offset:28 ; 4-byte Folded Reload
	;; [unrolled: 1-line block ×3, first 2 shown]
	s_add_i32 s6, s6, 1
	s_mul_i32 s11, s6, s20
	v_mov_b32_e32 v5, s17
	s_ashr_i32 s12, s11, 31
	s_lshr_b32 s12, s12, 29
	s_add_i32 s12, s11, s12
	s_ashr_i32 s12, s12, 3
	v_mov_b32_e32 v4, s15
	s_add_i32 s10, s10, s5
	s_waitcnt vmcnt(2)
	v_add_u32_e32 v0, s12, v0
	s_waitcnt vmcnt(1)
	v_add_u32_e32 v2, s11, v2
	s_waitcnt vmcnt(0)
	v_ashrrev_i32_e32 v3, 31, v2
	v_lshlrev_b64 v[2:3], 1, v[2:3]
	v_add_co_u32_e32 v2, vcc, s16, v2
	v_addc_co_u32_e32 v3, vcc, v5, v3, vcc
	global_load_dwordx2 v[2:3], v[2:3], off
	v_ashrrev_i32_e32 v1, 31, v0
	v_lshlrev_b64 v[0:1], 2, v[0:1]
	v_add_co_u32_e32 v0, vcc, s14, v0
	v_addc_co_u32_e32 v1, vcc, v4, v1, vcc
	global_load_dword v0, v[0:1], off
	s_waitcnt vmcnt(1)
	v_cvt_f32_f16_e32 v20, v2
	v_cvt_f32_f16_sdwa v21, v2 dst_sel:DWORD dst_unused:UNUSED_PAD src0_sel:WORD_1
	buffer_load_dword v2, off, s[28:31], 0 offset:40 ; 4-byte Folded Reload
	buffer_load_dword v5, off, s[28:31], 0 offset:44 ; 4-byte Folded Reload
	v_cvt_f32_f16_e32 v22, v3
	v_cvt_f32_f16_sdwa v23, v3 dst_sel:DWORD dst_unused:UNUSED_PAD src0_sel:WORD_1
	s_waitcnt vmcnt(1)
	v_lshrrev_b32_e32 v1, v2, v0
	v_bfe_u32 v0, v0, v2, 4
	v_bfe_u32 v2, v1, 4, 4
	;; [unrolled: 1-line block ×4, first 2 shown]
	s_waitcnt vmcnt(0)
	v_add_u32_e32 v0, v0, v5
	v_or_b32_e32 v4, 0xffffe400, v0
	v_cvt_f32_ubyte0_e32 v0, v0
	v_add_u32_e32 v2, v2, v5
	v_add_u32_e32 v3, v3, v5
	;; [unrolled: 1-line block ×3, first 2 shown]
	v_cvt_f16_f32_e32 v0, v0
	v_perm_b32 v46, v4, v4, s8
	v_or_b32_e32 v4, 0xffffe400, v2
	v_cvt_f32_ubyte0_e32 v2, v2
	v_or_b32_e32 v5, 0xffffe400, v3
	v_cvt_f32_ubyte0_e32 v3, v3
	;; [unrolled: 2-line block ×3, first 2 shown]
	v_cvt_f16_f32_e32 v2, v2
	v_cvt_f16_f32_e32 v3, v3
	;; [unrolled: 1-line block ×3, first 2 shown]
	v_sub_f16_e32 v0, 0xd400, v0
	v_pack_b32_f16 v50, v0, v0
	v_sub_f16_e32 v0, 0xd400, v2
	v_sub_f16_e32 v2, 0xd400, v3
	;; [unrolled: 1-line block ×3, first 2 shown]
	v_perm_b32 v47, v4, v4, s8
	v_perm_b32 v48, v5, v5, s8
	;; [unrolled: 1-line block ×3, first 2 shown]
	v_pack_b32_f16 v51, v0, v0
	v_pack_b32_f16 v52, v2, v2
	;; [unrolled: 1-line block ×3, first 2 shown]
	s_branch .LBB37_17
.LBB37_20:
	v_cvt_f16_f32_e32 v0, v33
	v_cvt_f16_f32_e32 v1, v32
	;; [unrolled: 1-line block ×6, first 2 shown]
	v_pack_b32_f16 v21, v1, v0
	v_pack_b32_f16 v20, v3, v2
	v_cvt_f16_f32_e32 v0, v19
	v_pack_b32_f16 v17, v5, v4
	v_cvt_f16_f32_e32 v1, v18
	v_cvt_f16_f32_e32 v2, v35
	;; [unrolled: 1-line block ×9, first 2 shown]
	v_pack_b32_f16 v15, v1, v0
	v_pack_b32_f16 v14, v3, v2
	;; [unrolled: 1-line block ×3, first 2 shown]
	v_cvt_f16_f32_e32 v0, v61
	v_cvt_f16_f32_e32 v1, v60
	;; [unrolled: 1-line block ×8, first 2 shown]
	v_pack_b32_f16 v16, v22, v16
	v_pack_b32_f16 v12, v12, v18
	;; [unrolled: 1-line block ×6, first 2 shown]
.LBB37_21:
	buffer_load_dword v0, off, s[28:31], 0 offset:28 ; 4-byte Folded Reload
	buffer_load_dword v1, off, s[28:31], 0 offset:32 ; 4-byte Folded Reload
	s_mul_i32 s7, s7, s20
	s_mov_b64 s[0:1], 0
	s_waitcnt vmcnt(1)
	v_add_u32_e32 v0, s7, v0
	s_waitcnt vmcnt(0)
	v_ashrrev_i32_e32 v1, 31, v0
	v_lshlrev_b64 v[2:3], 1, v[0:1]
	v_mov_b32_e32 v1, s19
	v_add_co_u32_e32 v2, vcc, s18, v2
	v_addc_co_u32_e32 v3, vcc, v1, v3, vcc
	global_load_dword v5, v[2:3], off
.LBB37_22:                              ; =>This Inner Loop Header: Depth=1
	s_waitcnt vmcnt(0)
	v_pk_add_f16 v4, v21, v5
	global_atomic_cmpswap v1, v[2:3], v[4:5], off glc
	s_waitcnt vmcnt(0)
	v_cmp_eq_u32_e32 vcc, v5, v1
	s_or_b64 s[0:1], vcc, s[0:1]
	v_mov_b32_e32 v5, v1
	s_andn2_b64 exec, exec, s[0:1]
	s_cbranch_execnz .LBB37_22
; %bb.23:
	s_or_b64 exec, exec, s[0:1]
	global_load_dword v5, v[2:3], off offset:4
	s_mov_b64 s[0:1], 0
.LBB37_24:                              ; =>This Inner Loop Header: Depth=1
	s_waitcnt vmcnt(0)
	v_pk_add_f16 v4, v20, v5
	global_atomic_cmpswap v1, v[2:3], v[4:5], off offset:4 glc
	s_waitcnt vmcnt(0)
	v_cmp_eq_u32_e32 vcc, v5, v1
	s_or_b64 s[0:1], vcc, s[0:1]
	v_mov_b32_e32 v5, v1
	s_andn2_b64 exec, exec, s[0:1]
	s_cbranch_execnz .LBB37_24
; %bb.25:
	s_or_b64 exec, exec, s[0:1]
	v_add_u32_e32 v0, s20, v0
	v_ashrrev_i32_e32 v1, 31, v0
	v_lshlrev_b64 v[2:3], 1, v[0:1]
	v_mov_b32_e32 v1, s19
	v_add_co_u32_e32 v2, vcc, s18, v2
	v_addc_co_u32_e32 v3, vcc, v1, v3, vcc
	global_load_dword v5, v[2:3], off
	s_mov_b64 s[0:1], 0
.LBB37_26:                              ; =>This Inner Loop Header: Depth=1
	s_waitcnt vmcnt(0)
	v_pk_add_f16 v4, v17, v5
	global_atomic_cmpswap v1, v[2:3], v[4:5], off glc
	s_waitcnt vmcnt(0)
	v_cmp_eq_u32_e32 vcc, v5, v1
	s_or_b64 s[0:1], vcc, s[0:1]
	v_mov_b32_e32 v5, v1
	s_andn2_b64 exec, exec, s[0:1]
	s_cbranch_execnz .LBB37_26
; %bb.27:
	s_or_b64 exec, exec, s[0:1]
	global_load_dword v5, v[2:3], off offset:4
	s_mov_b64 s[0:1], 0
.LBB37_28:                              ; =>This Inner Loop Header: Depth=1
	s_waitcnt vmcnt(0)
	v_pk_add_f16 v4, v16, v5
	global_atomic_cmpswap v1, v[2:3], v[4:5], off offset:4 glc
	s_waitcnt vmcnt(0)
	v_cmp_eq_u32_e32 vcc, v5, v1
	s_or_b64 s[0:1], vcc, s[0:1]
	v_mov_b32_e32 v5, v1
	s_andn2_b64 exec, exec, s[0:1]
	s_cbranch_execnz .LBB37_28
; %bb.29:
	s_or_b64 exec, exec, s[0:1]
	v_add_u32_e32 v0, s20, v0
	v_ashrrev_i32_e32 v1, 31, v0
	v_lshlrev_b64 v[2:3], 1, v[0:1]
	v_mov_b32_e32 v1, s19
	v_add_co_u32_e32 v2, vcc, s18, v2
	v_addc_co_u32_e32 v3, vcc, v1, v3, vcc
	global_load_dword v5, v[2:3], off
	s_mov_b64 s[0:1], 0
	;; [unrolled: 34-line block ×5, first 2 shown]
.LBB37_42:                              ; =>This Inner Loop Header: Depth=1
	s_waitcnt vmcnt(0)
	v_pk_add_f16 v2, v7, v3
	global_atomic_cmpswap v2, v[0:1], v[2:3], off glc
	s_waitcnt vmcnt(0)
	v_cmp_eq_u32_e32 vcc, v3, v2
	s_or_b64 s[0:1], vcc, s[0:1]
	v_mov_b32_e32 v3, v2
	s_andn2_b64 exec, exec, s[0:1]
	s_cbranch_execnz .LBB37_42
; %bb.43:
	s_or_b64 exec, exec, s[0:1]
	global_load_dword v3, v[0:1], off offset:4
	s_mov_b64 s[0:1], 0
.LBB37_44:                              ; =>This Inner Loop Header: Depth=1
	s_waitcnt vmcnt(0)
	v_pk_add_f16 v2, v6, v3
	global_atomic_cmpswap v2, v[0:1], v[2:3], off offset:4 glc
	s_waitcnt vmcnt(0)
	v_cmp_eq_u32_e32 vcc, v3, v2
	s_or_b64 s[0:1], vcc, s[0:1]
	v_mov_b32_e32 v3, v2
	s_andn2_b64 exec, exec, s[0:1]
	s_cbranch_execnz .LBB37_44
.LBB37_45:
	s_endpgm
	.section	.rodata,"a",@progbits
	.p2align	6, 0x0
	.amdhsa_kernel _ZN4vllm4gptq33gemm_half_q_half_gptq_4bit_kernelILb1ELi6EEEvPK6__halfPKjS6_S4_PS2_iiiibPKi
		.amdhsa_group_segment_fixed_size 1536
		.amdhsa_private_segment_fixed_size 52
		.amdhsa_kernarg_size 72
		.amdhsa_user_sgpr_count 6
		.amdhsa_user_sgpr_private_segment_buffer 1
		.amdhsa_user_sgpr_dispatch_ptr 0
		.amdhsa_user_sgpr_queue_ptr 0
		.amdhsa_user_sgpr_kernarg_segment_ptr 1
		.amdhsa_user_sgpr_dispatch_id 0
		.amdhsa_user_sgpr_flat_scratch_init 0
		.amdhsa_user_sgpr_kernarg_preload_length 0
		.amdhsa_user_sgpr_kernarg_preload_offset 0
		.amdhsa_user_sgpr_private_segment_size 0
		.amdhsa_uses_dynamic_stack 0
		.amdhsa_system_sgpr_private_segment_wavefront_offset 1
		.amdhsa_system_sgpr_workgroup_id_x 1
		.amdhsa_system_sgpr_workgroup_id_y 1
		.amdhsa_system_sgpr_workgroup_id_z 1
		.amdhsa_system_sgpr_workgroup_info 0
		.amdhsa_system_vgpr_workitem_id 0
		.amdhsa_next_free_vgpr 128
		.amdhsa_next_free_sgpr 32
		.amdhsa_accum_offset 128
		.amdhsa_reserve_vcc 1
		.amdhsa_reserve_flat_scratch 0
		.amdhsa_float_round_mode_32 0
		.amdhsa_float_round_mode_16_64 0
		.amdhsa_float_denorm_mode_32 3
		.amdhsa_float_denorm_mode_16_64 3
		.amdhsa_dx10_clamp 1
		.amdhsa_ieee_mode 1
		.amdhsa_fp16_overflow 0
		.amdhsa_tg_split 0
		.amdhsa_exception_fp_ieee_invalid_op 0
		.amdhsa_exception_fp_denorm_src 0
		.amdhsa_exception_fp_ieee_div_zero 0
		.amdhsa_exception_fp_ieee_overflow 0
		.amdhsa_exception_fp_ieee_underflow 0
		.amdhsa_exception_fp_ieee_inexact 0
		.amdhsa_exception_int_div_zero 0
	.end_amdhsa_kernel
	.section	.text._ZN4vllm4gptq33gemm_half_q_half_gptq_4bit_kernelILb1ELi6EEEvPK6__halfPKjS6_S4_PS2_iiiibPKi,"axG",@progbits,_ZN4vllm4gptq33gemm_half_q_half_gptq_4bit_kernelILb1ELi6EEEvPK6__halfPKjS6_S4_PS2_iiiibPKi,comdat
.Lfunc_end37:
	.size	_ZN4vllm4gptq33gemm_half_q_half_gptq_4bit_kernelILb1ELi6EEEvPK6__halfPKjS6_S4_PS2_iiiibPKi, .Lfunc_end37-_ZN4vllm4gptq33gemm_half_q_half_gptq_4bit_kernelILb1ELi6EEEvPK6__halfPKjS6_S4_PS2_iiiibPKi
                                        ; -- End function
	.section	.AMDGPU.csdata,"",@progbits
; Kernel info:
; codeLenInByte = 10768
; NumSgprs: 36
; NumVgprs: 128
; NumAgprs: 0
; TotalNumVgprs: 128
; ScratchSize: 52
; MemoryBound: 0
; FloatMode: 240
; IeeeMode: 1
; LDSByteSize: 1536 bytes/workgroup (compile time only)
; SGPRBlocks: 4
; VGPRBlocks: 15
; NumSGPRsForWavesPerEU: 36
; NumVGPRsForWavesPerEU: 128
; AccumOffset: 128
; Occupancy: 4
; WaveLimiterHint : 0
; COMPUTE_PGM_RSRC2:SCRATCH_EN: 1
; COMPUTE_PGM_RSRC2:USER_SGPR: 6
; COMPUTE_PGM_RSRC2:TRAP_HANDLER: 0
; COMPUTE_PGM_RSRC2:TGID_X_EN: 1
; COMPUTE_PGM_RSRC2:TGID_Y_EN: 1
; COMPUTE_PGM_RSRC2:TGID_Z_EN: 1
; COMPUTE_PGM_RSRC2:TIDIG_COMP_CNT: 0
; COMPUTE_PGM_RSRC3_GFX90A:ACCUM_OFFSET: 31
; COMPUTE_PGM_RSRC3_GFX90A:TG_SPLIT: 0
	.section	.text._ZN4vllm4gptq33gemm_half_q_half_gptq_8bit_kernelILb1ELi6EEEvPK6__halfPKjS6_S4_PS2_iiiibPKi,"axG",@progbits,_ZN4vllm4gptq33gemm_half_q_half_gptq_8bit_kernelILb1ELi6EEEvPK6__halfPKjS6_S4_PS2_iiiibPKi,comdat
	.protected	_ZN4vllm4gptq33gemm_half_q_half_gptq_8bit_kernelILb1ELi6EEEvPK6__halfPKjS6_S4_PS2_iiiibPKi ; -- Begin function _ZN4vllm4gptq33gemm_half_q_half_gptq_8bit_kernelILb1ELi6EEEvPK6__halfPKjS6_S4_PS2_iiiibPKi
	.globl	_ZN4vllm4gptq33gemm_half_q_half_gptq_8bit_kernelILb1ELi6EEEvPK6__halfPKjS6_S4_PS2_iiiibPKi
	.p2align	8
	.type	_ZN4vllm4gptq33gemm_half_q_half_gptq_8bit_kernelILb1ELi6EEEvPK6__halfPKjS6_S4_PS2_iiiibPKi,@function
_ZN4vllm4gptq33gemm_half_q_half_gptq_8bit_kernelILb1ELi6EEEvPK6__halfPKjS6_S4_PS2_iiiibPKi: ; @_ZN4vllm4gptq33gemm_half_q_half_gptq_8bit_kernelILb1ELi6EEEvPK6__halfPKjS6_S4_PS2_iiiibPKi
; %bb.0:
	s_mov_b64 s[30:31], s[2:3]
	s_load_dwordx8 s[12:19], s[4:5], 0x8
	s_load_dwordx4 s[20:23], s[4:5], 0x2c
	s_mov_b64 s[28:29], s[0:1]
	s_add_u32 s28, s28, s9
	s_addc_u32 s29, s29, 0
	s_lshl_b32 s24, s8, 7
	s_add_i32 s0, s24, 0x80
	v_cvt_f64_u32_e32 v[2:3], s0
	s_waitcnt lgkmcnt(0)
	v_cvt_f64_i32_e32 v[4:5], s21
	v_min_f64 v[2:3], v[2:3], v[4:5]
	v_cvt_i32_f64_e32 v1, v[2:3]
	v_add_u32_e32 v2, s24, v0
	s_mul_i32 s7, s7, 6
	v_readfirstlane_b32 s25, v1
	v_cmp_lt_u32_e32 vcc, v2, v1
	s_and_saveexec_b64 s[2:3], vcc
	s_cbranch_execz .LBB38_14
; %bb.1:
	s_load_dwordx2 s[0:1], s[4:5], 0x40
	s_load_dwordx2 s[8:9], s[4:5], 0x0
	v_mov_b32_e32 v3, 0
	v_lshlrev_b64 v[4:5], 2, v[2:3]
	v_pk_mov_b32 v[6:7], v[2:3], v[2:3] op_sel:[0,1]
	s_waitcnt lgkmcnt(0)
	s_cmp_lg_u64 s[0:1], 0
	v_mov_b32_e32 v1, s1
	v_add_co_u32_e32 v4, vcc, s0, v4
	s_cselect_b64 s[4:5], -1, 0
	s_cmp_eq_u64 s[0:1], 0
	v_addc_co_u32_e32 v5, vcc, v1, v5, vcc
	s_cbranch_scc1 .LBB38_3
; %bb.2:
	global_load_dword v6, v[4:5], off
	s_waitcnt vmcnt(0)
	v_ashrrev_i32_e32 v7, 31, v6
.LBB38_3:
	s_mul_i32 s10, s7, s21
	s_ashr_i32 s11, s10, 31
	s_lshl_b64 s[0:1], s[10:11], 1
	s_add_u32 s0, s8, s0
	s_addc_u32 s1, s9, s1
	v_lshlrev_b64 v[6:7], 1, v[6:7]
	v_mov_b32_e32 v1, s1
	v_add_co_u32_e32 v6, vcc, s0, v6
	v_addc_co_u32_e32 v7, vcc, v1, v7, vcc
	global_load_ushort v6, v[6:7], off
	v_lshlrev_b32_e32 v1, 1, v0
	v_cndmask_b32_e64 v7, 0, 1, s[4:5]
	v_cmp_ne_u32_e64 s[0:1], 1, v7
	s_andn2_b64 vcc, exec, s[4:5]
	s_waitcnt vmcnt(0)
	ds_write_b16 v1, v6
	v_pk_mov_b32 v[6:7], v[2:3], v[2:3] op_sel:[0,1]
	s_cbranch_vccnz .LBB38_5
; %bb.4:
	global_load_dword v6, v[4:5], off
	s_waitcnt vmcnt(0)
	v_ashrrev_i32_e32 v7, 31, v6
.LBB38_5:
	s_add_i32 s4, s10, s21
	s_ashr_i32 s5, s4, 31
	s_lshl_b64 s[10:11], s[4:5], 1
	s_add_u32 s5, s8, s10
	s_addc_u32 s10, s9, s11
	v_lshlrev_b64 v[6:7], 1, v[6:7]
	v_mov_b32_e32 v8, s10
	v_add_co_u32_e32 v6, vcc, s5, v6
	v_addc_co_u32_e32 v7, vcc, v8, v7, vcc
	global_load_ushort v6, v[6:7], off
	s_and_b64 vcc, exec, s[0:1]
	s_waitcnt vmcnt(0)
	ds_write_b16 v1, v6 offset:256
	v_pk_mov_b32 v[6:7], v[2:3], v[2:3] op_sel:[0,1]
	s_cbranch_vccnz .LBB38_7
; %bb.6:
	global_load_dword v6, v[4:5], off
	s_waitcnt vmcnt(0)
	v_ashrrev_i32_e32 v7, 31, v6
.LBB38_7:
	s_add_i32 s4, s4, s21
	s_ashr_i32 s5, s4, 31
	s_lshl_b64 s[10:11], s[4:5], 1
	s_add_u32 s5, s8, s10
	s_addc_u32 s10, s9, s11
	v_lshlrev_b64 v[6:7], 1, v[6:7]
	v_mov_b32_e32 v8, s10
	v_add_co_u32_e32 v6, vcc, s5, v6
	v_addc_co_u32_e32 v7, vcc, v8, v7, vcc
	global_load_ushort v6, v[6:7], off
	s_and_b64 vcc, exec, s[0:1]
	s_waitcnt vmcnt(0)
	ds_write_b16 v1, v6 offset:512
	v_pk_mov_b32 v[6:7], v[2:3], v[2:3] op_sel:[0,1]
	s_cbranch_vccnz .LBB38_9
; %bb.8:
	global_load_dword v6, v[4:5], off
	s_waitcnt vmcnt(0)
	v_ashrrev_i32_e32 v7, 31, v6
.LBB38_9:
	s_add_i32 s4, s4, s21
	s_ashr_i32 s5, s4, 31
	s_lshl_b64 s[10:11], s[4:5], 1
	s_add_u32 s5, s8, s10
	s_addc_u32 s10, s9, s11
	v_lshlrev_b64 v[6:7], 1, v[6:7]
	v_mov_b32_e32 v8, s10
	v_add_co_u32_e32 v6, vcc, s5, v6
	v_addc_co_u32_e32 v7, vcc, v8, v7, vcc
	global_load_ushort v6, v[6:7], off
	s_and_b64 vcc, exec, s[0:1]
	s_waitcnt vmcnt(0)
	ds_write_b16 v1, v6 offset:768
	v_pk_mov_b32 v[6:7], v[2:3], v[2:3] op_sel:[0,1]
	s_cbranch_vccnz .LBB38_11
; %bb.10:
	global_load_dword v6, v[4:5], off
	s_waitcnt vmcnt(0)
	v_ashrrev_i32_e32 v7, 31, v6
.LBB38_11:
	s_add_i32 s4, s4, s21
	s_ashr_i32 s5, s4, 31
	s_lshl_b64 s[10:11], s[4:5], 1
	s_add_u32 s5, s8, s10
	s_addc_u32 s10, s9, s11
	v_lshlrev_b64 v[6:7], 1, v[6:7]
	v_mov_b32_e32 v8, s10
	v_add_co_u32_e32 v6, vcc, s5, v6
	v_addc_co_u32_e32 v7, vcc, v8, v7, vcc
	global_load_ushort v6, v[6:7], off
	s_and_b64 vcc, exec, s[0:1]
	s_waitcnt vmcnt(0)
	ds_write_b16 v1, v6 offset:1024
	s_cbranch_vccnz .LBB38_13
; %bb.12:
	global_load_dword v2, v[4:5], off
	s_waitcnt vmcnt(0)
	v_ashrrev_i32_e32 v3, 31, v2
.LBB38_13:
	s_add_i32 s0, s4, s21
	s_ashr_i32 s1, s0, 31
	s_lshl_b64 s[0:1], s[0:1], 1
	s_add_u32 s0, s8, s0
	s_addc_u32 s1, s9, s1
	v_lshlrev_b64 v[2:3], 1, v[2:3]
	v_mov_b32_e32 v4, s1
	v_add_co_u32_e32 v2, vcc, s0, v2
	v_addc_co_u32_e32 v3, vcc, v4, v3, vcc
	global_load_ushort v2, v[2:3], off
	s_waitcnt vmcnt(0)
	ds_write_b16 v1, v2 offset:1280
.LBB38_14:
	s_or_b64 exec, exec, s[2:3]
	v_lshlrev_b32_e32 v0, 2, v0
	v_lshl_add_u32 v2, s6, 9, v0
	v_mov_b32_e32 v0, v2
	v_cmp_gt_i32_e32 vcc, s20, v2
	buffer_store_dword v0, off, s[28:31], 0 offset:300 ; 4-byte Folded Spill
	s_nop 0
	buffer_store_dword v1, off, s[28:31], 0 offset:304 ; 4-byte Folded Spill
	s_and_saveexec_b64 s[0:1], vcc
	s_cbranch_execz .LBB38_45
; %bb.15:
	s_abs_i32 s0, s22
	v_cvt_f32_u32_e32 v0, s0
	s_mov_b32 s2, 0
	v_mov_b32_e32 v40, 0
	v_mov_b32_e32 v26, 0
	v_rcp_iflag_f32_e32 v0, v0
	v_mov_b32_e32 v39, 0
	v_mov_b32_e32 v22, 0
	s_cmp_ge_i32 s24, s25
	v_mul_f32_e32 v0, 0x4f7ffffe, v0
	v_cvt_u32_f32_e32 v0, v0
	v_mov_b32_e32 v38, 0
	v_mov_b32_e32 v11, 0
	;; [unrolled: 1-line block ×3, first 2 shown]
	v_readfirstlane_b32 s1, v0
	v_mov_b32_e32 v10, 0
	v_mov_b32_e32 v32, 0
	;; [unrolled: 1-line block ×5, first 2 shown]
	s_waitcnt lgkmcnt(0)
	s_barrier
	s_cbranch_scc1 .LBB38_21
; %bb.16:
	buffer_load_dword v2, off, s[28:31], 0 offset:300 ; 4-byte Folded Reload
	buffer_load_dword v3, off, s[28:31], 0 offset:304 ; 4-byte Folded Reload
	s_sub_i32 s6, 0, s0
	s_mul_i32 s6, s6, s1
	s_mul_hi_u32 s6, s1, s6
	s_abs_i32 s5, s21
	s_add_i32 s1, s1, s6
	s_ashr_i32 s3, s21, 31
	s_ashr_i32 s4, s22, 31
	s_mul_hi_u32 s1, s5, s1
	s_xor_b32 s3, s3, s4
	s_mul_i32 s4, s1, s0
	s_sub_i32 s4, s5, s4
	s_add_i32 s5, s1, 1
	s_sub_i32 s6, s4, s0
	s_cmp_ge_u32 s4, s0
	s_cselect_b32 s1, s5, s1
	s_cselect_b32 s4, s6, s4
	s_add_i32 s5, s1, 1
	s_cmp_ge_u32 s4, s0
	s_cselect_b32 s0, s5, s1
	s_xor_b32 s0, s0, s3
	s_sub_i32 s3, s0, s3
	v_cvt_f32_u32_e32 v0, s3
	s_bitcmp1_b32 s23, 0
	s_cselect_b64 s[0:1], -1, 0
	s_sub_i32 s4, 0, s3
	v_rcp_iflag_f32_e32 v0, v0
	s_xor_b64 s[0:1], s[0:1], -1
	v_mov_b32_e32 v5, s15
	v_mov_b32_e32 v4, s17
	v_mul_f32_e32 v0, 0x4f7ffffe, v0
	v_cvt_u32_f32_e32 v0, v0
	v_mov_b32_e32 v7, 0
	v_mov_b32_e32 v33, 0
	v_mov_b32_e32 v6, 0
	v_readfirstlane_b32 s5, v0
	s_mul_i32 s4, s4, s5
	s_mul_hi_u32 s4, s5, s4
	s_add_i32 s5, s5, s4
	s_mul_hi_u32 s4, s24, s5
	s_mul_i32 s5, s4, s3
	s_sub_i32 s5, s24, s5
	s_add_i32 s6, s4, 1
	s_sub_i32 s8, s5, s3
	s_cmp_ge_u32 s5, s3
	s_cselect_b32 s4, s6, s4
	s_cselect_b32 s5, s8, s5
	s_add_i32 s6, s4, 1
	s_cmp_ge_u32 s5, s3
	s_cselect_b32 s4, s6, s4
	s_mul_i32 s5, s4, s20
	s_ashr_i32 s6, s5, 31
	s_lshr_b32 s6, s6, 30
	v_mov_b32_e32 v32, 0
	v_mov_b32_e32 v10, 0
	;; [unrolled: 1-line block ×9, first 2 shown]
	s_waitcnt vmcnt(1)
	v_mov_b32_e32 v8, v2
	v_add_u32_e32 v0, s5, v8
	s_add_i32 s5, s5, s6
	v_ashrrev_i32_e32 v2, 2, v8
	s_ashr_i32 s5, s5, 2
	buffer_store_dword v2, off, s[28:31], 0 offset:308 ; 4-byte Folded Spill
	v_add_u32_e32 v2, s5, v2
	s_waitcnt vmcnt(1)
	v_ashrrev_i32_e32 v3, 31, v2
	v_lshlrev_b64 v[2:3], 2, v[2:3]
	v_add_co_u32_e32 v2, vcc, s14, v2
	v_addc_co_u32_e32 v3, vcc, v5, v3, vcc
	global_load_dword v2, v[2:3], off
	v_ashrrev_i32_e32 v1, 31, v0
	v_lshlrev_b64 v[0:1], 1, v[0:1]
	v_cndmask_b32_e64 v3, 0, 1, s[0:1]
	s_lshr_b32 s0, s24, 2
	v_add_co_u32_e32 v0, vcc, s16, v0
	s_mul_i32 s0, s0, s20
	v_addc_co_u32_e32 v1, vcc, v4, v1, vcc
	s_ashr_i32 s1, s0, 31
	global_load_dwordx2 v[20:21], v[0:1], off
	v_mov_b32_e32 v0, v8
	s_lshl_b64 s[0:1], s[0:1], 2
	v_ashrrev_i32_e32 v9, 31, v8
	buffer_store_dword v0, off, s[28:31], 0 offset:300 ; 4-byte Folded Spill
	s_nop 0
	buffer_store_dword v1, off, s[28:31], 0 offset:304 ; 4-byte Folded Spill
	s_add_u32 s6, s12, s0
	v_lshlrev_b64 v[0:1], 2, v[8:9]
	s_addc_u32 s0, s13, s1
	buffer_store_dword v3, off, s[28:31], 0 offset:296 ; 4-byte Folded Spill
	v_mov_b32_e32 v3, s0
	v_add_co_u32_e32 v4, vcc, s6, v0
	v_addc_co_u32_e32 v5, vcc, v3, v1, vcc
	s_ashr_i32 s21, s20, 31
	s_add_i32 s5, s3, s24
	s_lshl_b64 s[0:1], s[20:21], 2
	s_waitcnt vmcnt(4)
	v_and_b32_e32 v0, 0xff, v2
	buffer_store_dword v0, off, s[28:31], 0 offset:232 ; 4-byte Folded Spill
	s_nop 0
	buffer_store_dword v1, off, s[28:31], 0 offset:236 ; 4-byte Folded Spill
	buffer_store_dword v2, off, s[28:31], 0 offset:240 ; 4-byte Folded Spill
	buffer_store_dword v3, off, s[28:31], 0 offset:244 ; 4-byte Folded Spill
	v_bfe_u32 v1, v2, 8, 8
	buffer_store_dword v0, off, s[28:31], 0 offset:248 ; 4-byte Folded Spill
	s_nop 0
	buffer_store_dword v1, off, s[28:31], 0 offset:252 ; 4-byte Folded Spill
	buffer_store_dword v2, off, s[28:31], 0 offset:256 ; 4-byte Folded Spill
	;; [unrolled: 1-line block ×3, first 2 shown]
	v_bfe_u32 v8, v2, 16, 8
	v_lshrrev_b32_e32 v3, 24, v2
	buffer_store_dword v6, off, s[28:31], 0 offset:264 ; 4-byte Folded Spill
	s_nop 0
	buffer_store_dword v7, off, s[28:31], 0 offset:268 ; 4-byte Folded Spill
	buffer_store_dword v8, off, s[28:31], 0 offset:272 ; 4-byte Folded Spill
	;; [unrolled: 1-line block ×4, first 2 shown]
	s_nop 0
	buffer_store_dword v1, off, s[28:31], 0 offset:284 ; 4-byte Folded Spill
	buffer_store_dword v2, off, s[28:31], 0 offset:288 ; 4-byte Folded Spill
	;; [unrolled: 1-line block ×3, first 2 shown]
	s_branch .LBB38_19
.LBB38_17:                              ;   in Loop: Header=BB38_19 Depth=1
	buffer_load_dword v0, off, s[28:31], 0 offset:308 ; 4-byte Folded Reload
	s_add_i32 s4, s4, 1
	s_mul_i32 s6, s4, s20
	s_ashr_i32 s8, s6, 31
	s_lshr_b32 s8, s8, 30
	s_add_i32 s8, s6, s8
	s_ashr_i32 s8, s8, 2
	v_mov_b32_e32 v2, s15
	v_mov_b32_e32 v3, s17
	s_add_i32 s5, s5, s3
	s_waitcnt vmcnt(0)
	v_add_u32_e32 v0, s8, v0
	v_ashrrev_i32_e32 v1, 31, v0
	v_lshlrev_b64 v[0:1], 2, v[0:1]
	v_add_co_u32_e32 v0, vcc, s14, v0
	v_addc_co_u32_e32 v1, vcc, v2, v1, vcc
	global_load_dword v2, v[0:1], off
	s_nop 0
	buffer_load_dword v0, off, s[28:31], 0 offset:300 ; 4-byte Folded Reload
	buffer_load_dword v1, off, s[28:31], 0 offset:304 ; 4-byte Folded Reload
	s_waitcnt vmcnt(2)
	v_and_b32_e32 v6, 0xff, v2
	s_waitcnt vmcnt(1)
	v_add_u32_e32 v0, s6, v0
	s_waitcnt vmcnt(0)
	v_ashrrev_i32_e32 v1, 31, v0
	v_lshlrev_b64 v[0:1], 1, v[0:1]
	v_add_co_u32_e32 v0, vcc, s16, v0
	v_addc_co_u32_e32 v1, vcc, v3, v1, vcc
	global_load_dwordx2 v[0:1], v[0:1], off
	v_bfe_u32 v12, v2, 16, 8
	v_lshrrev_b32_e32 v7, 24, v2
	s_waitcnt vmcnt(0)
	buffer_store_dword v0, off, s[28:31], 0 offset:48 ; 4-byte Folded Spill
	s_nop 0
	buffer_store_dword v1, off, s[28:31], 0 offset:52 ; 4-byte Folded Spill
	v_bfe_u32 v1, v2, 8, 8
.LBB38_18:                              ;   in Loop: Header=BB38_19 Depth=1
	v_mov_b32_e32 v3, v1
	global_load_dwordx4 v[8:11], v[4:5], off
	buffer_load_dword v0, off, s[28:31], 0 offset:296 ; 4-byte Folded Reload
	s_nop 0
	buffer_store_dword v2, off, s[28:31], 0 offset:248 ; 4-byte Folded Spill
	s_nop 0
	buffer_store_dword v3, off, s[28:31], 0 offset:252 ; 4-byte Folded Spill
	buffer_store_dword v4, off, s[28:31], 0 offset:256 ; 4-byte Folded Spill
	;; [unrolled: 1-line block ×3, first 2 shown]
	v_mov_b32_e32 v2, v6
	v_mov_b32_e32 v89, s1
	;; [unrolled: 1-line block ×3, first 2 shown]
	s_add_i32 s2, s2, 64
	s_add_i32 s24, s24, 32
	s_cmp_ge_i32 s24, s25
	buffer_store_dword v2, off, s[28:31], 0 offset:232 ; 4-byte Folded Spill
	s_nop 0
	buffer_store_dword v3, off, s[28:31], 0 offset:236 ; 4-byte Folded Spill
	buffer_store_dword v4, off, s[28:31], 0 offset:240 ; 4-byte Folded Spill
	;; [unrolled: 1-line block ×3, first 2 shown]
	v_mov_b32_e32 v3, v7
	s_waitcnt vmcnt(8)
	v_add_u32_e32 v90, v1, v0
	v_add_u32_e32 v91, v6, v0
	v_sub_u32_sdwa v15, v9, v90 dst_sel:DWORD dst_unused:UNUSED_PAD src0_sel:BYTE_1 src1_sel:DWORD
	v_sub_u32_sdwa v17, v8, v91 dst_sel:DWORD dst_unused:UNUSED_PAD src0_sel:BYTE_1 src1_sel:DWORD
	v_cvt_f32_i32_e32 v15, v15
	v_cvt_f32_i32_e32 v17, v17
	v_sub_u32_sdwa v25, v8, v91 dst_sel:DWORD dst_unused:UNUSED_PAD src0_sel:BYTE_2 src1_sel:DWORD
	v_cvt_f32_i32_e32 v25, v25
	v_cvt_f16_f32_e32 v15, v15
	v_cvt_f16_f32_e32 v17, v17
	v_sub_u32_sdwa v23, v9, v90 dst_sel:DWORD dst_unused:UNUSED_PAD src0_sel:BYTE_2 src1_sel:DWORD
	v_cvt_f32_i32_e32 v23, v23
	v_cvt_f16_f32_e32 v25, v25
	v_cvt_f32_f16_e32 v37, v15
	v_cvt_f32_f16_e32 v36, v17
	v_cvt_f16_f32_e32 v23, v23
	v_cvt_f32_f16_e32 v78, v25
	buffer_store_dword v0, off, s[28:31], 0 offset:280 ; 4-byte Folded Spill
	s_nop 0
	buffer_store_dword v1, off, s[28:31], 0 offset:284 ; 4-byte Folded Spill
	buffer_store_dword v2, off, s[28:31], 0 offset:288 ; 4-byte Folded Spill
	;; [unrolled: 1-line block ×3, first 2 shown]
	v_mov_b32_e32 v2, v12
	v_add_co_u32_e32 v4, vcc, s0, v4
	v_addc_co_u32_e32 v5, vcc, v5, v89, vcc
	v_cvt_f32_f16_e32 v79, v23
	v_add_u32_e32 v92, v7, v0
	buffer_store_dword v0, off, s[28:31], 0 offset:264 ; 4-byte Folded Spill
	s_nop 0
	buffer_store_dword v1, off, s[28:31], 0 offset:268 ; 4-byte Folded Spill
	buffer_store_dword v2, off, s[28:31], 0 offset:272 ; 4-byte Folded Spill
	;; [unrolled: 1-line block ×3, first 2 shown]
	ds_read_b128 v[48:51], v88
	ds_read_b128 v[52:55], v88 offset:256
	ds_read_b128 v[56:59], v88 offset:512
	;; [unrolled: 1-line block ×5, first 2 shown]
	global_load_dwordx4 v[72:75], v[4:5], off
	v_sub_u32_sdwa v1, v9, v90 dst_sel:DWORD dst_unused:UNUSED_PAD src0_sel:BYTE_0 src1_sel:DWORD
	v_sub_u32_sdwa v3, v8, v91 dst_sel:DWORD dst_unused:UNUSED_PAD src0_sel:BYTE_0 src1_sel:DWORD
	;; [unrolled: 1-line block ×3, first 2 shown]
	v_sub_u32_sdwa v19, v11, v92 dst_sel:DWORD dst_unused:UNUSED_PAD src0_sel:BYTE_1 src1_sel:DWORD
	v_cvt_f32_i32_e32 v1, v1
	v_cvt_f32_i32_e32 v3, v3
	v_cvt_f32_i32_e32 v7, v7
	v_cvt_f32_i32_e32 v19, v19
	v_cvt_f16_f32_e32 v1, v1
	v_cvt_f16_f32_e32 v3, v3
	;; [unrolled: 1-line block ×4, first 2 shown]
	s_waitcnt lgkmcnt(5)
	v_cvt_f32_f16_e32 v2, v48
	v_cvt_f32_f16_e32 v33, v1
	;; [unrolled: 1-line block ×4, first 2 shown]
	v_cvt_f32_f16_sdwa v20, v48 dst_sel:DWORD dst_unused:UNUSED_PAD src0_sel:WORD_1
	s_waitcnt lgkmcnt(3)
	v_cvt_f32_f16_sdwa v24, v56 dst_sel:DWORD dst_unused:UNUSED_PAD src0_sel:WORD_1
	v_cvt_f32_f16_e32 v43, v19
	v_cvt_f32_f16_e32 v6, v52
	s_waitcnt lgkmcnt(2)
	v_cvt_f32_f16_e32 v14, v60
	s_waitcnt lgkmcnt(1)
	;; [unrolled: 2-line block ×3, first 2 shown]
	v_cvt_f32_f16_e32 v18, v68
	v_cvt_f32_f16_sdwa v22, v52 dst_sel:DWORD dst_unused:UNUSED_PAD src0_sel:WORD_1
	v_cvt_f32_f16_sdwa v26, v60 dst_sel:DWORD dst_unused:UNUSED_PAD src0_sel:WORD_1
	;; [unrolled: 1-line block ×4, first 2 shown]
	v_pk_fma_f32 v[38:39], v[32:33], v[2:3], 0 op_sel_hi:[1,0,0]
	v_pk_fma_f32 v[40:41], v[32:33], v[6:7], 0 op_sel_hi:[1,0,0]
	;; [unrolled: 1-line block ×7, first 2 shown]
	v_sub_u32_sdwa v9, v9, v90 dst_sel:DWORD dst_unused:UNUSED_PAD src0_sel:BYTE_3 src1_sel:DWORD
	v_sub_u32_sdwa v8, v8, v91 dst_sel:DWORD dst_unused:UNUSED_PAD src0_sel:BYTE_3 src1_sel:DWORD
	v_cvt_f32_f16_e32 v48, v65
	v_add_u32_e32 v93, v12, v0
	v_sub_u32_sdwa v13, v10, v93 dst_sel:DWORD dst_unused:UNUSED_PAD src0_sel:BYTE_0 src1_sel:DWORD
	v_sub_u32_sdwa v21, v10, v93 dst_sel:DWORD dst_unused:UNUSED_PAD src0_sel:BYTE_1 src1_sel:DWORD
	v_cvt_f32_i32_e32 v13, v13
	v_cvt_f32_i32_e32 v21, v21
	v_cvt_f32_f16_e32 v12, v56
	v_cvt_f32_f16_e32 v0, v49
	v_cvt_f16_f32_e32 v13, v13
	v_cvt_f16_f32_e32 v21, v21
	v_cvt_f32_f16_e32 v34, v13
	v_cvt_f32_f16_e32 v42, v21
	v_pk_fma_f32 v[44:45], v[32:33], v[12:13], 0 op_sel_hi:[1,0,0]
	v_pk_fma_f32 v[82:83], v[36:37], v[20:21], v[38:39] op_sel_hi:[1,0,1]
	;; [unrolled: 1-line block ×5, first 2 shown]
	v_add_co_u32_e32 v24, vcc, s0, v4
	v_pk_fma_f32 v[32:33], v[32:33], v[18:19], 0 op_sel_hi:[1,0,0]
	v_pk_fma_f32 v[14:15], v[34:35], v[14:15], 0 op_sel_hi:[1,0,0]
	;; [unrolled: 1-line block ×4, first 2 shown]
	v_addc_co_u32_e32 v25, vcc, v5, v89, vcc
	v_pk_fma_f32 v[102:103], v[36:37], v[30:31], v[32:33] op_sel_hi:[1,0,1]
	v_pk_fma_f32 v[40:41], v[42:43], v[26:27], v[14:15] op_sel_hi:[1,0,1]
	;; [unrolled: 1-line block ×4, first 2 shown]
	global_load_dwordx4 v[30:33], v[24:25], off
	v_pk_fma_f32 v[2:3], v[34:35], v[2:3], 0 op_sel_hi:[1,0,0]
	v_pk_fma_f32 v[6:7], v[34:35], v[6:7], 0 op_sel_hi:[1,0,0]
	;; [unrolled: 1-line block ×5, first 2 shown]
	v_sub_u32_sdwa v1, v11, v92 dst_sel:DWORD dst_unused:UNUSED_PAD src0_sel:BYTE_2 src1_sel:DWORD
	v_sub_u32_sdwa v6, v10, v93 dst_sel:DWORD dst_unused:UNUSED_PAD src0_sel:BYTE_2 src1_sel:DWORD
	v_cvt_f32_i32_e32 v1, v1
	v_cvt_f32_i32_e32 v6, v6
	v_cvt_f32_f16_e32 v42, v57
	v_cvt_f32_f16_e32 v44, v61
	v_cvt_f16_f32_e32 v1, v1
	v_cvt_f16_f32_e32 v6, v6
	v_cvt_f32_f16_e32 v18, v53
	v_pk_fma_f32 v[16:17], v[78:79], v[44:45], v[46:47] op_sel_hi:[1,0,1]
	v_cvt_f32_f16_e32 v77, v1
	v_cvt_f32_f16_e32 v76, v6
	;; [unrolled: 1-line block ×3, first 2 shown]
	v_pk_fma_f32 v[12:13], v[78:79], v[18:19], v[84:85] op_sel_hi:[1,0,1]
	v_pk_fma_f32 v[14:15], v[78:79], v[42:43], v[86:87] op_sel_hi:[1,0,1]
	;; [unrolled: 1-line block ×4, first 2 shown]
	v_cvt_f32_i32_e32 v38, v9
	v_cvt_f32_i32_e32 v39, v8
	v_pk_fma_f32 v[8:9], v[76:77], v[48:49], v[26:27] op_sel_hi:[1,0,1]
	v_pk_fma_f32 v[26:27], v[76:77], v[46:47], v[28:29] op_sel_hi:[1,0,1]
	v_cvt_f16_f32_e32 v28, v38
	v_cvt_f16_f32_e32 v29, v39
	v_pk_fma_f32 v[18:19], v[76:77], v[18:19], v[36:37] op_sel_hi:[1,0,1]
	v_pk_fma_f32 v[36:37], v[76:77], v[44:45], v[40:41] op_sel_hi:[1,0,1]
	v_sub_u32_sdwa v39, v11, v92 dst_sel:DWORD dst_unused:UNUSED_PAD src0_sel:BYTE_3 src1_sel:DWORD
	v_sub_u32_sdwa v41, v10, v93 dst_sel:DWORD dst_unused:UNUSED_PAD src0_sel:BYTE_3 src1_sel:DWORD
	v_cvt_f32_f16_e32 v11, v28
	v_cvt_f32_f16_e32 v10, v29
	v_cvt_f32_f16_sdwa v28, v49 dst_sel:DWORD dst_unused:UNUSED_PAD src0_sel:WORD_1
	v_cvt_f32_f16_sdwa v38, v53 dst_sel:DWORD dst_unused:UNUSED_PAD src0_sel:WORD_1
	v_pk_fma_f32 v[22:23], v[78:79], v[46:47], v[102:103] op_sel_hi:[1,0,1]
	v_cvt_f32_f16_sdwa v40, v57 dst_sel:DWORD dst_unused:UNUSED_PAD src0_sel:WORD_1
	v_pk_fma_f32 v[2:3], v[10:11], v[28:29], v[2:3] op_sel_hi:[1,0,1]
	v_pk_fma_f32 v[12:13], v[10:11], v[38:39], v[12:13] op_sel_hi:[1,0,1]
	v_cvt_f32_i32_e32 v29, v39
	v_cvt_f32_i32_e32 v39, v41
	v_cvt_f32_f16_sdwa v42, v61 dst_sel:DWORD dst_unused:UNUSED_PAD src0_sel:WORD_1
	v_cvt_f32_f16_sdwa v44, v65 dst_sel:DWORD dst_unused:UNUSED_PAD src0_sel:WORD_1
	;; [unrolled: 1-line block ×3, first 2 shown]
	v_cvt_f16_f32_e32 v29, v29
	v_cvt_f16_f32_e32 v39, v39
	v_pk_fma_f32 v[20:21], v[78:79], v[48:49], v[100:101] op_sel_hi:[1,0,1]
	v_pk_fma_f32 v[14:15], v[10:11], v[40:41], v[14:15] op_sel_hi:[1,0,1]
	;; [unrolled: 1-line block ×5, first 2 shown]
	v_cvt_f32_f16_e32 v23, v29
	v_cvt_f32_f16_e32 v22, v39
	s_waitcnt vmcnt(1)
	v_sub_u32_sdwa v29, v73, v90 dst_sel:DWORD dst_unused:UNUSED_PAD src0_sel:BYTE_0 src1_sel:DWORD
	v_sub_u32_sdwa v39, v72, v91 dst_sel:DWORD dst_unused:UNUSED_PAD src0_sel:BYTE_0 src1_sel:DWORD
	v_cvt_f32_i32_e32 v29, v29
	v_cvt_f32_i32_e32 v39, v39
	ds_read_b128 v[4:7], v88 offset:16
	v_pk_fma_f32 v[0:1], v[22:23], v[28:29], v[0:1] op_sel_hi:[1,0,1]
	v_pk_fma_f32 v[18:19], v[22:23], v[38:39], v[18:19] op_sel_hi:[1,0,1]
	v_cvt_f16_f32_e32 v38, v29
	v_cvt_f16_f32_e32 v39, v39
	v_pk_fma_f32 v[28:29], v[22:23], v[40:41], v[34:35] op_sel_hi:[1,0,1]
	v_pk_fma_f32 v[34:35], v[22:23], v[42:43], v[36:37] op_sel_hi:[1,0,1]
	v_cvt_f32_f16_e32 v37, v38
	v_cvt_f32_f16_e32 v36, v39
	;; [unrolled: 1-line block ×3, first 2 shown]
	v_pk_fma_f32 v[42:43], v[22:23], v[44:45], v[8:9] op_sel_hi:[1,0,1]
	v_cvt_f32_f16_e32 v38, v54
	v_pk_fma_f32 v[22:23], v[22:23], v[46:47], v[26:27] op_sel_hi:[1,0,1]
	v_pk_fma_f32 v[8:9], v[36:37], v[40:41], v[14:15] op_sel_hi:[1,0,1]
	buffer_store_dword v8, off, s[28:31], 0 offset:56 ; 4-byte Folded Spill
	s_nop 0
	buffer_store_dword v9, off, s[28:31], 0 offset:60 ; 4-byte Folded Spill
	v_sub_u32_sdwa v8, v75, v92 dst_sel:DWORD dst_unused:UNUSED_PAD src0_sel:BYTE_0 src1_sel:DWORD
	v_sub_u32_sdwa v9, v74, v93 dst_sel:DWORD dst_unused:UNUSED_PAD src0_sel:BYTE_0 src1_sel:DWORD
	v_cvt_f32_i32_e32 v8, v8
	v_cvt_f32_i32_e32 v9, v9
	v_cvt_f32_f16_e32 v14, v66
	v_pk_fma_f32 v[86:87], v[36:37], v[38:39], v[12:13] op_sel_hi:[1,0,1]
	v_cvt_f16_f32_e32 v8, v8
	v_cvt_f16_f32_e32 v9, v9
	v_pk_fma_f32 v[84:85], v[36:37], v[14:15], v[20:21] op_sel_hi:[1,0,1]
	v_cvt_f32_f16_e32 v20, v50
	v_cvt_f32_f16_e32 v27, v8
	;; [unrolled: 1-line block ×4, first 2 shown]
	v_pk_fma_f32 v[100:101], v[36:37], v[20:21], v[2:3] op_sel_hi:[1,0,1]
	s_waitcnt vmcnt(2)
	v_sub_u32_sdwa v2, v31, v90 dst_sel:DWORD dst_unused:UNUSED_PAD src0_sel:BYTE_1 src1_sel:DWORD
	v_pk_fma_f32 v[102:103], v[26:27], v[20:21], v[0:1] op_sel_hi:[1,0,1]
	v_sub_u32_sdwa v0, v31, v90 dst_sel:DWORD dst_unused:UNUSED_PAD src0_sel:BYTE_0 src1_sel:DWORD
	v_sub_u32_sdwa v1, v30, v91 dst_sel:DWORD dst_unused:UNUSED_PAD src0_sel:BYTE_0 src1_sel:DWORD
	v_pk_fma_f32 v[64:65], v[36:37], v[12:13], v[16:17] op_sel_hi:[1,0,1]
	v_cvt_f32_f16_e32 v16, v70
	v_cvt_f32_i32_e32 v0, v0
	v_cvt_f32_i32_e32 v1, v1
	v_sub_u32_sdwa v3, v30, v91 dst_sel:DWORD dst_unused:UNUSED_PAD src0_sel:BYTE_1 src1_sel:DWORD
	v_cvt_f32_i32_e32 v2, v2
	v_cvt_f32_i32_e32 v3, v3
	v_pk_fma_f32 v[68:69], v[36:37], v[16:17], v[10:11] op_sel_hi:[1,0,1]
	ds_read_b128 v[8:11], v88 offset:272
	v_pk_fma_f32 v[56:57], v[26:27], v[12:13], v[34:35] op_sel_hi:[1,0,1]
	v_cvt_f16_f32_e32 v0, v0
	v_cvt_f16_f32_e32 v12, v1
	;; [unrolled: 1-line block ×4, first 2 shown]
	v_cvt_f32_f16_e32 v1, v0
	v_cvt_f32_f16_e32 v0, v12
	s_waitcnt lgkmcnt(1)
	v_cvt_f32_f16_e32 v36, v4
	v_pk_fma_f32 v[80:81], v[26:27], v[38:39], v[18:19] op_sel_hi:[1,0,1]
	v_cvt_f32_f16_e32 v35, v2
	v_cvt_f32_f16_e32 v34, v3
	v_cvt_f32_f16_sdwa v4, v4 dst_sel:DWORD dst_unused:UNUSED_PAD src0_sel:WORD_1
	s_waitcnt lgkmcnt(0)
	v_cvt_f32_f16_e32 v38, v8
	v_cvt_f32_f16_sdwa v8, v8 dst_sel:DWORD dst_unused:UNUSED_PAD src0_sel:WORD_1
	v_pk_fma_f32 v[12:13], v[0:1], v[36:37], 0 op_sel_hi:[1,0,0]
	v_pk_fma_f32 v[60:61], v[26:27], v[40:41], v[28:29] op_sel_hi:[1,0,1]
	;; [unrolled: 1-line block ×6, first 2 shown]
	ds_read_b128 v[12:15], v88 offset:528
	v_pk_fma_f32 v[52:53], v[26:27], v[16:17], v[22:23] op_sel_hi:[1,0,1]
	v_sub_u32_sdwa v2, v33, v92 dst_sel:DWORD dst_unused:UNUSED_PAD src0_sel:BYTE_0 src1_sel:DWORD
	v_sub_u32_sdwa v3, v32, v93 dst_sel:DWORD dst_unused:UNUSED_PAD src0_sel:BYTE_0 src1_sel:DWORD
	v_cvt_f32_i32_e32 v2, v2
	s_waitcnt lgkmcnt(0)
	v_cvt_f32_f16_e32 v44, v12
	v_cvt_f32_f16_sdwa v12, v12 dst_sel:DWORD dst_unused:UNUSED_PAD src0_sel:WORD_1
	v_cvt_f32_i32_e32 v3, v3
	v_cvt_f16_f32_e32 v2, v2
	v_pk_fma_f32 v[16:17], v[0:1], v[44:45], 0 op_sel_hi:[1,0,0]
	v_pk_fma_f32 v[46:47], v[34:35], v[12:13], v[16:17] op_sel_hi:[1,0,1]
	ds_read_b128 v[16:19], v88 offset:784
	v_cvt_f16_f32_e32 v3, v3
	s_waitcnt lgkmcnt(0)
	v_cvt_f32_f16_e32 v48, v16
	v_cvt_f32_f16_sdwa v16, v16 dst_sel:DWORD dst_unused:UNUSED_PAD src0_sel:WORD_1
	v_pk_fma_f32 v[20:21], v[0:1], v[48:49], 0 op_sel_hi:[1,0,0]
	v_pk_fma_f32 v[76:77], v[34:35], v[16:17], v[20:21] op_sel_hi:[1,0,1]
	ds_read_b128 v[20:23], v88 offset:1040
	s_waitcnt lgkmcnt(0)
	v_cvt_f32_f16_e32 v78, v20
	v_cvt_f32_f16_sdwa v20, v20 dst_sel:DWORD dst_unused:UNUSED_PAD src0_sel:WORD_1
	v_pk_fma_f32 v[26:27], v[0:1], v[78:79], 0 op_sel_hi:[1,0,0]
	v_pk_fma_f32 v[104:105], v[34:35], v[20:21], v[26:27] op_sel_hi:[1,0,1]
	ds_read_b128 v[26:29], v88 offset:1296
	s_waitcnt lgkmcnt(0)
	v_cvt_f32_f16_e32 v106, v26
	v_cvt_f32_f16_sdwa v26, v26 dst_sel:DWORD dst_unused:UNUSED_PAD src0_sel:WORD_1
	v_pk_fma_f32 v[0:1], v[0:1], v[106:107], 0 op_sel_hi:[1,0,0]
	v_pk_fma_f32 v[0:1], v[34:35], v[26:27], v[0:1] op_sel_hi:[1,0,1]
	v_cvt_f32_f16_e32 v35, v2
	v_cvt_f32_f16_e32 v34, v3
	v_sub_u32_sdwa v2, v33, v92 dst_sel:DWORD dst_unused:UNUSED_PAD src0_sel:BYTE_1 src1_sel:DWORD
	v_sub_u32_sdwa v3, v32, v93 dst_sel:DWORD dst_unused:UNUSED_PAD src0_sel:BYTE_1 src1_sel:DWORD
	v_cvt_f32_i32_e32 v2, v2
	v_cvt_f32_i32_e32 v3, v3
	v_pk_fma_f32 v[36:37], v[34:35], v[36:37], 0 op_sel_hi:[1,0,0]
	v_pk_fma_f32 v[38:39], v[34:35], v[38:39], 0 op_sel_hi:[1,0,0]
	v_cvt_f16_f32_e32 v2, v2
	v_cvt_f16_f32_e32 v3, v3
	v_pk_fma_f32 v[44:45], v[34:35], v[44:45], 0 op_sel_hi:[1,0,0]
	v_pk_fma_f32 v[48:49], v[34:35], v[48:49], 0 op_sel_hi:[1,0,0]
	v_cvt_f32_f16_e32 v109, v2
	v_cvt_f32_f16_e32 v108, v3
	v_sub_u32_sdwa v2, v31, v90 dst_sel:DWORD dst_unused:UNUSED_PAD src0_sel:BYTE_2 src1_sel:DWORD
	v_sub_u32_sdwa v3, v30, v91 dst_sel:DWORD dst_unused:UNUSED_PAD src0_sel:BYTE_2 src1_sel:DWORD
	v_cvt_f32_i32_e32 v2, v2
	v_cvt_f32_i32_e32 v3, v3
	v_pk_fma_f32 v[78:79], v[34:35], v[78:79], 0 op_sel_hi:[1,0,0]
	v_pk_fma_f32 v[34:35], v[34:35], v[106:107], 0 op_sel_hi:[1,0,0]
	v_cvt_f16_f32_e32 v2, v2
	v_cvt_f16_f32_e32 v3, v3
	v_pk_fma_f32 v[36:37], v[108:109], v[4:5], v[36:37] op_sel_hi:[1,0,1]
	v_pk_fma_f32 v[38:39], v[108:109], v[8:9], v[38:39] op_sel_hi:[1,0,1]
	v_cvt_f32_f16_e32 v107, v2
	v_cvt_f32_f16_e32 v106, v3
	v_sub_u32_sdwa v2, v33, v92 dst_sel:DWORD dst_unused:UNUSED_PAD src0_sel:BYTE_2 src1_sel:DWORD
	v_sub_u32_sdwa v3, v32, v93 dst_sel:DWORD dst_unused:UNUSED_PAD src0_sel:BYTE_2 src1_sel:DWORD
	v_cvt_f32_i32_e32 v2, v2
	v_cvt_f32_i32_e32 v3, v3
	v_pk_fma_f32 v[44:45], v[108:109], v[12:13], v[44:45] op_sel_hi:[1,0,1]
	v_pk_fma_f32 v[48:49], v[108:109], v[16:17], v[48:49] op_sel_hi:[1,0,1]
	v_pk_fma_f32 v[78:79], v[108:109], v[20:21], v[78:79] op_sel_hi:[1,0,1]
	v_pk_fma_f32 v[34:35], v[108:109], v[26:27], v[34:35] op_sel_hi:[1,0,1]
	v_cvt_f32_f16_e32 v4, v5
	v_cvt_f32_f16_e32 v8, v9
	;; [unrolled: 1-line block ×6, first 2 shown]
	v_cvt_f16_f32_e32 v2, v2
	v_cvt_f16_f32_e32 v3, v3
	v_pk_fma_f32 v[40:41], v[106:107], v[4:5], v[40:41] op_sel_hi:[1,0,1]
	v_pk_fma_f32 v[42:43], v[106:107], v[8:9], v[42:43] op_sel_hi:[1,0,1]
	;; [unrolled: 1-line block ×6, first 2 shown]
	v_cvt_f32_f16_e32 v107, v2
	v_cvt_f32_f16_e32 v106, v3
	v_sub_u32_sdwa v2, v31, v90 dst_sel:DWORD dst_unused:UNUSED_PAD src0_sel:BYTE_3 src1_sel:DWORD
	v_sub_u32_sdwa v3, v30, v91 dst_sel:DWORD dst_unused:UNUSED_PAD src0_sel:BYTE_3 src1_sel:DWORD
	v_cvt_f32_i32_e32 v2, v2
	v_cvt_f32_i32_e32 v3, v3
	v_pk_fma_f32 v[36:37], v[106:107], v[4:5], v[36:37] op_sel_hi:[1,0,1]
	v_cvt_f32_f16_sdwa v4, v9 dst_sel:DWORD dst_unused:UNUSED_PAD src0_sel:WORD_1
	v_cvt_f16_f32_e32 v2, v2
	v_cvt_f16_f32_e32 v3, v3
	v_pk_fma_f32 v[48:49], v[106:107], v[16:17], v[48:49] op_sel_hi:[1,0,1]
	v_cvt_f32_f16_sdwa v16, v13 dst_sel:DWORD dst_unused:UNUSED_PAD src0_sel:WORD_1
	v_cvt_f32_f16_e32 v31, v2
	v_cvt_f32_f16_e32 v30, v3
	v_pk_fma_f32 v[78:79], v[106:107], v[20:21], v[78:79] op_sel_hi:[1,0,1]
	v_cvt_f32_f16_sdwa v20, v17 dst_sel:DWORD dst_unused:UNUSED_PAD src0_sel:WORD_1
	v_pk_fma_f32 v[38:39], v[106:107], v[8:9], v[38:39] op_sel_hi:[1,0,1]
	v_pk_fma_f32 v[2:3], v[30:31], v[4:5], v[42:43] op_sel_hi:[1,0,1]
	buffer_store_dword v2, off, s[28:31], 0 offset:152 ; 4-byte Folded Spill
	s_nop 0
	buffer_store_dword v3, off, s[28:31], 0 offset:156 ; 4-byte Folded Spill
	v_pk_fma_f32 v[34:35], v[106:107], v[26:27], v[34:35] op_sel_hi:[1,0,1]
	v_sub_u32_sdwa v8, v33, v92 dst_sel:DWORD dst_unused:UNUSED_PAD src0_sel:BYTE_3 src1_sel:DWORD
	v_sub_u32_sdwa v33, v32, v93 dst_sel:DWORD dst_unused:UNUSED_PAD src0_sel:BYTE_3 src1_sel:DWORD
	v_pk_fma_f32 v[2:3], v[30:31], v[16:17], v[46:47] op_sel_hi:[1,0,1]
	v_cvt_f32_f16_sdwa v26, v21 dst_sel:DWORD dst_unused:UNUSED_PAD src0_sel:WORD_1
	v_cvt_f32_f16_sdwa v32, v27 dst_sel:DWORD dst_unused:UNUSED_PAD src0_sel:WORD_1
	buffer_store_dword v2, off, s[28:31], 0 offset:160 ; 4-byte Folded Spill
	s_nop 0
	buffer_store_dword v3, off, s[28:31], 0 offset:164 ; 4-byte Folded Spill
	v_pk_fma_f32 v[2:3], v[30:31], v[20:21], v[76:77] op_sel_hi:[1,0,1]
	buffer_store_dword v2, off, s[28:31], 0 offset:168 ; 4-byte Folded Spill
	s_nop 0
	buffer_store_dword v3, off, s[28:31], 0 offset:172 ; 4-byte Folded Spill
	v_pk_fma_f32 v[2:3], v[30:31], v[26:27], v[104:105] op_sel_hi:[1,0,1]
	v_pk_fma_f32 v[0:1], v[30:31], v[32:33], v[0:1] op_sel_hi:[1,0,1]
	buffer_store_dword v2, off, s[28:31], 0 offset:176 ; 4-byte Folded Spill
	s_nop 0
	buffer_store_dword v3, off, s[28:31], 0 offset:180 ; 4-byte Folded Spill
	buffer_store_dword v0, off, s[28:31], 0 offset:216 ; 4-byte Folded Spill
	s_nop 0
	buffer_store_dword v1, off, s[28:31], 0 offset:220 ; 4-byte Folded Spill
	v_cvt_f32_f16_sdwa v0, v5 dst_sel:DWORD dst_unused:UNUSED_PAD src0_sel:WORD_1
	v_pk_fma_f32 v[44:45], v[106:107], v[12:13], v[44:45] op_sel_hi:[1,0,1]
	v_cvt_f32_i32_e32 v2, v33
	v_cvt_f16_f32_e32 v2, v2
	v_pk_fma_f32 v[12:13], v[30:31], v[0:1], v[40:41] op_sel_hi:[1,0,1]
	v_cvt_f32_i32_e32 v1, v8
	v_cvt_f32_f16_e32 v30, v2
	v_cvt_f16_f32_e32 v1, v1
	v_cvt_f32_f16_e32 v31, v1
	v_pk_fma_f32 v[0:1], v[30:31], v[0:1], v[36:37] op_sel_hi:[1,0,1]
	buffer_store_dword v0, off, s[28:31], 0 offset:184 ; 4-byte Folded Spill
	s_nop 0
	buffer_store_dword v1, off, s[28:31], 0 offset:188 ; 4-byte Folded Spill
	v_pk_fma_f32 v[0:1], v[30:31], v[4:5], v[38:39] op_sel_hi:[1,0,1]
	buffer_store_dword v0, off, s[28:31], 0 offset:192 ; 4-byte Folded Spill
	s_nop 0
	buffer_store_dword v1, off, s[28:31], 0 offset:196 ; 4-byte Folded Spill
	v_pk_fma_f32 v[0:1], v[30:31], v[16:17], v[44:45] op_sel_hi:[1,0,1]
	v_add_co_u32_e32 v4, vcc, s0, v24
	buffer_store_dword v0, off, s[28:31], 0 offset:200 ; 4-byte Folded Spill
	s_nop 0
	buffer_store_dword v1, off, s[28:31], 0 offset:204 ; 4-byte Folded Spill
	v_addc_co_u32_e32 v5, vcc, v25, v89, vcc
	v_pk_fma_f32 v[0:1], v[30:31], v[26:27], v[78:79] op_sel_hi:[1,0,1]
	v_add_co_u32_e32 v8, vcc, s0, v4
	buffer_store_dword v0, off, s[28:31], 0 offset:208 ; 4-byte Folded Spill
	s_nop 0
	buffer_store_dword v1, off, s[28:31], 0 offset:212 ; 4-byte Folded Spill
	v_addc_co_u32_e32 v9, vcc, v5, v89, vcc
	global_load_dwordx4 v[76:79], v[8:9], off
	ds_read_b128 v[24:27], v88 offset:32
	v_pk_fma_f32 v[20:21], v[30:31], v[20:21], v[48:49] op_sel_hi:[1,0,1]
	v_pk_fma_f32 v[16:17], v[30:31], v[32:33], v[34:35] op_sel_hi:[1,0,1]
	s_waitcnt lgkmcnt(0)
	v_cvt_f32_f16_e32 v108, v24
	v_cvt_f32_f16_sdwa v24, v24 dst_sel:DWORD dst_unused:UNUSED_PAD src0_sel:WORD_1
	s_waitcnt vmcnt(0)
	v_sub_u32_sdwa v0, v77, v90 dst_sel:DWORD dst_unused:UNUSED_PAD src0_sel:BYTE_0 src1_sel:DWORD
	v_sub_u32_sdwa v1, v76, v91 dst_sel:DWORD dst_unused:UNUSED_PAD src0_sel:BYTE_0 src1_sel:DWORD
	v_cvt_f32_i32_e32 v0, v0
	v_cvt_f32_i32_e32 v1, v1
	v_cvt_f16_f32_e32 v0, v0
	v_cvt_f16_f32_e32 v1, v1
	v_cvt_f32_f16_e32 v105, v0
	v_cvt_f32_f16_e32 v104, v1
	v_sub_u32_sdwa v0, v77, v90 dst_sel:DWORD dst_unused:UNUSED_PAD src0_sel:BYTE_1 src1_sel:DWORD
	v_sub_u32_sdwa v1, v76, v91 dst_sel:DWORD dst_unused:UNUSED_PAD src0_sel:BYTE_1 src1_sel:DWORD
	v_cvt_f32_i32_e32 v0, v0
	v_cvt_f32_i32_e32 v1, v1
	v_pk_fma_f32 v[30:31], v[104:105], v[108:109], 0 op_sel_hi:[1,0,0]
	v_cvt_f16_f32_e32 v0, v0
	v_cvt_f16_f32_e32 v1, v1
	v_cvt_f32_f16_e32 v107, v0
	v_cvt_f32_f16_e32 v106, v1
	v_sub_u32_sdwa v0, v79, v92 dst_sel:DWORD dst_unused:UNUSED_PAD src0_sel:BYTE_0 src1_sel:DWORD
	v_sub_u32_sdwa v1, v78, v93 dst_sel:DWORD dst_unused:UNUSED_PAD src0_sel:BYTE_0 src1_sel:DWORD
	v_cvt_f32_i32_e32 v0, v0
	v_pk_fma_f32 v[112:113], v[106:107], v[24:25], v[30:31] op_sel_hi:[1,0,1]
	ds_read_b128 v[30:33], v88 offset:288
	v_cvt_f32_i32_e32 v1, v1
	v_cvt_f16_f32_e32 v0, v0
	s_waitcnt lgkmcnt(0)
	v_cvt_f32_f16_e32 v110, v30
	v_cvt_f32_f16_sdwa v30, v30 dst_sel:DWORD dst_unused:UNUSED_PAD src0_sel:WORD_1
	v_cvt_f16_f32_e32 v1, v1
	v_pk_fma_f32 v[34:35], v[104:105], v[110:111], 0 op_sel_hi:[1,0,0]
	v_pk_fma_f32 v[114:115], v[106:107], v[30:31], v[34:35] op_sel_hi:[1,0,1]
	ds_read_b128 v[34:37], v88 offset:544
	s_waitcnt lgkmcnt(0)
	v_cvt_f32_f16_e32 v116, v34
	v_cvt_f32_f16_sdwa v34, v34 dst_sel:DWORD dst_unused:UNUSED_PAD src0_sel:WORD_1
	v_pk_fma_f32 v[38:39], v[104:105], v[116:117], 0 op_sel_hi:[1,0,0]
	v_pk_fma_f32 v[118:119], v[106:107], v[34:35], v[38:39] op_sel_hi:[1,0,1]
	ds_read_b128 v[38:41], v88 offset:800
	s_waitcnt lgkmcnt(0)
	v_cvt_f32_f16_e32 v120, v38
	v_cvt_f32_f16_sdwa v38, v38 dst_sel:DWORD dst_unused:UNUSED_PAD src0_sel:WORD_1
	;; [unrolled: 6-line block ×4, first 2 shown]
	v_pk_fma_f32 v[104:105], v[104:105], v[94:95], 0 op_sel_hi:[1,0,0]
	v_pk_fma_f32 v[96:97], v[106:107], v[46:47], v[104:105] op_sel_hi:[1,0,1]
	v_cvt_f32_f16_e32 v105, v0
	v_cvt_f32_f16_e32 v104, v1
	v_sub_u32_sdwa v0, v79, v92 dst_sel:DWORD dst_unused:UNUSED_PAD src0_sel:BYTE_1 src1_sel:DWORD
	v_sub_u32_sdwa v1, v78, v93 dst_sel:DWORD dst_unused:UNUSED_PAD src0_sel:BYTE_1 src1_sel:DWORD
	v_cvt_f32_i32_e32 v0, v0
	v_cvt_f32_i32_e32 v1, v1
	v_pk_fma_f32 v[108:109], v[104:105], v[108:109], 0 op_sel_hi:[1,0,0]
	v_cvt_f16_f32_e32 v0, v0
	v_cvt_f16_f32_e32 v1, v1
	v_cvt_f32_f16_e32 v107, v0
	v_cvt_f32_f16_e32 v106, v1
	v_sub_u32_sdwa v0, v77, v90 dst_sel:DWORD dst_unused:UNUSED_PAD src0_sel:BYTE_2 src1_sel:DWORD
	v_sub_u32_sdwa v1, v76, v91 dst_sel:DWORD dst_unused:UNUSED_PAD src0_sel:BYTE_2 src1_sel:DWORD
	v_cvt_f32_i32_e32 v0, v0
	v_cvt_f32_i32_e32 v1, v1
	v_pk_fma_f32 v[98:99], v[106:107], v[24:25], v[108:109] op_sel_hi:[1,0,1]
	v_pk_fma_f32 v[108:109], v[104:105], v[110:111], 0 op_sel_hi:[1,0,0]
	v_cvt_f16_f32_e32 v0, v0
	v_cvt_f16_f32_e32 v24, v1
	v_pk_fma_f32 v[2:3], v[106:107], v[30:31], v[108:109] op_sel_hi:[1,0,1]
	v_pk_fma_f32 v[108:109], v[104:105], v[116:117], 0 op_sel_hi:[1,0,0]
	;; [unrolled: 1-line block ×9, first 2 shown]
	v_cvt_f32_f16_e32 v1, v0
	v_cvt_f32_f16_e32 v0, v24
	;; [unrolled: 1-line block ×8, first 2 shown]
	v_pk_fma_f32 v[104:105], v[0:1], v[24:25], v[114:115] op_sel_hi:[1,0,1]
	v_pk_fma_f32 v[106:107], v[0:1], v[30:31], v[118:119] op_sel_hi:[1,0,1]
	;; [unrolled: 1-line block ×6, first 2 shown]
	v_sub_u32_sdwa v0, v79, v92 dst_sel:DWORD dst_unused:UNUSED_PAD src0_sel:BYTE_2 src1_sel:DWORD
	v_sub_u32_sdwa v1, v78, v93 dst_sel:DWORD dst_unused:UNUSED_PAD src0_sel:BYTE_2 src1_sel:DWORD
	v_cvt_f32_i32_e32 v0, v0
	v_cvt_f32_i32_e32 v1, v1
	v_cvt_f16_f32_e32 v0, v0
	v_cvt_f16_f32_e32 v96, v1
	v_cvt_f32_f16_e32 v1, v0
	v_cvt_f32_f16_e32 v0, v96
	buffer_load_dword v96, off, s[28:31], 0 offset:56 ; 4-byte Folded Reload
	buffer_load_dword v97, off, s[28:31], 0 offset:60 ; 4-byte Folded Reload
	v_pk_fma_f32 v[112:113], v[0:1], v[46:47], v[98:99] op_sel_hi:[1,0,1]
	v_pk_fma_f32 v[114:115], v[0:1], v[24:25], v[2:3] op_sel_hi:[1,0,1]
	;; [unrolled: 1-line block ×6, first 2 shown]
	v_sub_u32_sdwa v0, v73, v90 dst_sel:DWORD dst_unused:UNUSED_PAD src0_sel:BYTE_1 src1_sel:DWORD
	v_sub_u32_sdwa v1, v72, v91 dst_sel:DWORD dst_unused:UNUSED_PAD src0_sel:BYTE_1 src1_sel:DWORD
	v_cvt_f32_i32_e32 v0, v0
	v_cvt_f32_i32_e32 v1, v1
	v_sub_u32_sdwa v46, v75, v92 dst_sel:DWORD dst_unused:UNUSED_PAD src0_sel:BYTE_1 src1_sel:DWORD
	v_cvt_f32_i32_e32 v46, v46
	v_cvt_f16_f32_e32 v0, v0
	v_cvt_f16_f32_e32 v2, v1
	v_cvt_f32_f16_sdwa v24, v70 dst_sel:DWORD dst_unused:UNUSED_PAD src0_sel:WORD_1
	v_cvt_f32_f16_sdwa v30, v54 dst_sel:DWORD dst_unused:UNUSED_PAD src0_sel:WORD_1
	v_cvt_f32_f16_e32 v1, v0
	v_cvt_f32_f16_e32 v0, v2
	v_cvt_f32_f16_sdwa v2, v50 dst_sel:DWORD dst_unused:UNUSED_PAD src0_sel:WORD_1
	v_cvt_f32_f16_sdwa v34, v58 dst_sel:DWORD dst_unused:UNUSED_PAD src0_sel:WORD_1
	;; [unrolled: 1-line block ×4, first 2 shown]
	v_pk_fma_f32 v[94:95], v[0:1], v[2:3], v[100:101] op_sel_hi:[1,0,1]
	v_sub_u32_sdwa v3, v74, v93 dst_sel:DWORD dst_unused:UNUSED_PAD src0_sel:BYTE_1 src1_sel:DWORD
	v_cvt_f32_i32_e32 v3, v3
	v_cvt_f16_f32_e32 v46, v46
	v_pk_fma_f32 v[68:69], v[0:1], v[24:25], v[68:69] op_sel_hi:[1,0,1]
	v_pk_fma_f32 v[86:87], v[0:1], v[30:31], v[86:87] op_sel_hi:[1,0,1]
	v_cvt_f16_f32_e32 v3, v3
	v_pk_fma_f32 v[64:65], v[0:1], v[38:39], v[64:65] op_sel_hi:[1,0,1]
	v_sub_u32_sdwa v50, v75, v92 dst_sel:DWORD dst_unused:UNUSED_PAD src0_sel:BYTE_2 src1_sel:DWORD
	v_sub_u32_sdwa v54, v74, v93 dst_sel:DWORD dst_unused:UNUSED_PAD src0_sel:BYTE_2 src1_sel:DWORD
	v_cvt_f32_i32_e32 v50, v50
	v_cvt_f32_i32_e32 v54, v54
	v_sub_u32_sdwa v58, v74, v93 dst_sel:DWORD dst_unused:UNUSED_PAD src0_sel:BYTE_3 src1_sel:DWORD
	v_sub_u32_sdwa v62, v75, v92 dst_sel:DWORD dst_unused:UNUSED_PAD src0_sel:BYTE_3 src1_sel:DWORD
	v_cvt_f16_f32_e32 v50, v50
	v_cvt_f16_f32_e32 v54, v54
	s_waitcnt vmcnt(0)
	v_pk_fma_f32 v[96:97], v[0:1], v[34:35], v[96:97] op_sel_hi:[1,0,1]
	v_pk_fma_f32 v[0:1], v[0:1], v[42:43], v[84:85] op_sel_hi:[1,0,1]
	v_cvt_f32_f16_e32 v84, v3
	v_cvt_f32_f16_e32 v85, v46
	;; [unrolled: 1-line block ×3, first 2 shown]
	v_pk_fma_f32 v[52:53], v[84:85], v[24:25], v[52:53] op_sel_hi:[1,0,1]
	v_pk_fma_f32 v[80:81], v[84:85], v[30:31], v[80:81] op_sel_hi:[1,0,1]
	v_sub_u32_sdwa v24, v73, v90 dst_sel:DWORD dst_unused:UNUSED_PAD src0_sel:BYTE_2 src1_sel:DWORD
	v_sub_u32_sdwa v30, v72, v91 dst_sel:DWORD dst_unused:UNUSED_PAD src0_sel:BYTE_2 src1_sel:DWORD
	v_cvt_f32_i32_e32 v24, v24
	v_cvt_f32_i32_e32 v30, v30
	v_pk_fma_f32 v[2:3], v[84:85], v[2:3], v[102:103] op_sel_hi:[1,0,1]
	v_pk_fma_f32 v[60:61], v[84:85], v[34:35], v[60:61] op_sel_hi:[1,0,1]
	v_cvt_f16_f32_e32 v24, v24
	v_cvt_f16_f32_e32 v30, v30
	v_pk_fma_f32 v[56:57], v[84:85], v[38:39], v[56:57] op_sel_hi:[1,0,1]
	v_pk_fma_f32 v[82:83], v[84:85], v[42:43], v[82:83] op_sel_hi:[1,0,1]
	v_cvt_f32_f16_e32 v85, v24
	v_cvt_f32_f16_e32 v84, v30
	v_cvt_f32_f16_e32 v24, v51
	v_cvt_f32_f16_e32 v30, v71
	v_cvt_f32_f16_e32 v34, v55
	v_cvt_f32_f16_e32 v38, v59
	v_cvt_f32_f16_e32 v42, v63
	v_pk_fma_f32 v[94:95], v[84:85], v[24:25], v[94:95] op_sel_hi:[1,0,1]
	v_pk_fma_f32 v[68:69], v[84:85], v[30:31], v[68:69] op_sel_hi:[1,0,1]
	;; [unrolled: 1-line block ×6, first 2 shown]
	v_cvt_f32_f16_e32 v85, v50
	v_cvt_f32_f16_e32 v84, v54
	v_sub_u32_sdwa v50, v72, v91 dst_sel:DWORD dst_unused:UNUSED_PAD src0_sel:BYTE_3 src1_sel:DWORD
	v_sub_u32_sdwa v54, v73, v90 dst_sel:DWORD dst_unused:UNUSED_PAD src0_sel:BYTE_3 src1_sel:DWORD
	v_cvt_f32_i32_e32 v50, v50
	v_pk_fma_f32 v[2:3], v[84:85], v[24:25], v[2:3] op_sel_hi:[1,0,1]
	v_cvt_f32_f16_sdwa v24, v51 dst_sel:DWORD dst_unused:UNUSED_PAD src0_sel:WORD_1
	v_cvt_f32_i32_e32 v51, v54
	v_cvt_f16_f32_e32 v50, v50
	v_pk_fma_f32 v[82:83], v[84:85], v[46:47], v[82:83] op_sel_hi:[1,0,1]
	v_cvt_f32_f16_sdwa v46, v71 dst_sel:DWORD dst_unused:UNUSED_PAD src0_sel:WORD_1
	v_cvt_f16_f32_e32 v51, v51
	v_cvt_f32_f16_e32 v50, v50
	v_pk_fma_f32 v[52:53], v[84:85], v[30:31], v[52:53] op_sel_hi:[1,0,1]
	v_cvt_f32_f16_sdwa v30, v55 dst_sel:DWORD dst_unused:UNUSED_PAD src0_sel:WORD_1
	v_cvt_f32_f16_e32 v51, v51
	v_pk_fma_f32 v[80:81], v[84:85], v[34:35], v[80:81] op_sel_hi:[1,0,1]
	v_cvt_f32_f16_sdwa v34, v59 dst_sel:DWORD dst_unused:UNUSED_PAD src0_sel:WORD_1
	v_pk_fma_f32 v[60:61], v[84:85], v[38:39], v[60:61] op_sel_hi:[1,0,1]
	v_pk_fma_f32 v[54:55], v[50:51], v[24:25], v[94:95] op_sel_hi:[1,0,1]
	buffer_store_dword v54, off, s[28:31], 0 offset:136 ; 4-byte Folded Spill
	s_nop 0
	buffer_store_dword v55, off, s[28:31], 0 offset:140 ; 4-byte Folded Spill
	v_pk_fma_f32 v[54:55], v[50:51], v[46:47], v[68:69] op_sel_hi:[1,0,1]
	buffer_store_dword v54, off, s[28:31], 0 offset:144 ; 4-byte Folded Spill
	s_nop 0
	buffer_store_dword v55, off, s[28:31], 0 offset:148 ; 4-byte Folded Spill
	v_pk_fma_f32 v[56:57], v[84:85], v[42:43], v[56:57] op_sel_hi:[1,0,1]
	v_cvt_f32_f16_sdwa v38, v63 dst_sel:DWORD dst_unused:UNUSED_PAD src0_sel:WORD_1
	v_cvt_f32_f16_sdwa v42, v67 dst_sel:DWORD dst_unused:UNUSED_PAD src0_sel:WORD_1
	v_pk_fma_f32 v[54:55], v[50:51], v[30:31], v[86:87] op_sel_hi:[1,0,1]
	buffer_store_dword v54, off, s[28:31], 0 offset:128 ; 4-byte Folded Spill
	s_nop 0
	buffer_store_dword v55, off, s[28:31], 0 offset:132 ; 4-byte Folded Spill
	v_pk_fma_f32 v[54:55], v[50:51], v[34:35], v[96:97] op_sel_hi:[1,0,1]
	buffer_store_dword v54, off, s[28:31], 0 offset:120 ; 4-byte Folded Spill
	s_nop 0
	buffer_store_dword v55, off, s[28:31], 0 offset:124 ; 4-byte Folded Spill
	v_pk_fma_f32 v[54:55], v[50:51], v[38:39], v[64:65] op_sel_hi:[1,0,1]
	v_pk_fma_f32 v[0:1], v[50:51], v[42:43], v[0:1] op_sel_hi:[1,0,1]
	buffer_store_dword v54, off, s[28:31], 0 offset:112 ; 4-byte Folded Spill
	s_nop 0
	buffer_store_dword v55, off, s[28:31], 0 offset:116 ; 4-byte Folded Spill
	buffer_store_dword v0, off, s[28:31], 0 offset:104 ; 4-byte Folded Spill
	s_nop 0
	buffer_store_dword v1, off, s[28:31], 0 offset:108 ; 4-byte Folded Spill
	v_cvt_f32_i32_e32 v0, v62
	v_cvt_f32_i32_e32 v1, v58
	v_cvt_f16_f32_e32 v0, v0
	v_cvt_f16_f32_e32 v50, v1
	v_cvt_f32_f16_e32 v1, v0
	v_cvt_f32_f16_e32 v0, v50
	v_pk_fma_f32 v[50:51], v[0:1], v[46:47], v[52:53] op_sel_hi:[1,0,1]
	v_pk_fma_f32 v[2:3], v[0:1], v[24:25], v[2:3] op_sel_hi:[1,0,1]
	buffer_store_dword v50, off, s[28:31], 0 offset:96 ; 4-byte Folded Spill
	s_nop 0
	buffer_store_dword v51, off, s[28:31], 0 offset:100 ; 4-byte Folded Spill
	buffer_store_dword v2, off, s[28:31], 0 offset:88 ; 4-byte Folded Spill
	s_nop 0
	buffer_store_dword v3, off, s[28:31], 0 offset:92 ; 4-byte Folded Spill
	v_pk_fma_f32 v[2:3], v[0:1], v[30:31], v[80:81] op_sel_hi:[1,0,1]
	buffer_store_dword v2, off, s[28:31], 0 offset:80 ; 4-byte Folded Spill
	s_nop 0
	buffer_store_dword v3, off, s[28:31], 0 offset:84 ; 4-byte Folded Spill
	v_pk_fma_f32 v[2:3], v[0:1], v[34:35], v[60:61] op_sel_hi:[1,0,1]
	;; [unrolled: 4-line block ×3, first 2 shown]
	v_pk_fma_f32 v[0:1], v[0:1], v[42:43], v[82:83] op_sel_hi:[1,0,1]
	buffer_store_dword v2, off, s[28:31], 0 offset:64 ; 4-byte Folded Spill
	s_nop 0
	buffer_store_dword v3, off, s[28:31], 0 offset:68 ; 4-byte Folded Spill
	buffer_store_dword v0, off, s[28:31], 0 offset:56 ; 4-byte Folded Spill
	s_nop 0
	buffer_store_dword v1, off, s[28:31], 0 offset:60 ; 4-byte Folded Spill
	global_load_dwordx4 v[0:3], v[4:5], off
	s_nop 0
	buffer_load_dword v50, off, s[28:31], 0 offset:216 ; 4-byte Folded Reload
	buffer_load_dword v51, off, s[28:31], 0 offset:220 ; 4-byte Folded Reload
	;; [unrolled: 1-line block ×18, first 2 shown]
	v_cvt_f32_f16_e32 v30, v28
	v_cvt_f32_f16_e32 v34, v10
	;; [unrolled: 1-line block ×5, first 2 shown]
	v_cvt_f32_f16_sdwa v10, v10 dst_sel:DWORD dst_unused:UNUSED_PAD src0_sel:WORD_1
	v_cvt_f32_f16_sdwa v14, v14 dst_sel:DWORD dst_unused:UNUSED_PAD src0_sel:WORD_1
	;; [unrolled: 1-line block ×4, first 2 shown]
	s_waitcnt vmcnt(18)
	v_sub_u32_sdwa v4, v1, v90 dst_sel:DWORD dst_unused:UNUSED_PAD src0_sel:BYTE_0 src1_sel:DWORD
	v_sub_u32_sdwa v5, v0, v91 dst_sel:DWORD dst_unused:UNUSED_PAD src0_sel:BYTE_0 src1_sel:DWORD
	v_cvt_f32_i32_e32 v4, v4
	v_cvt_f32_i32_e32 v5, v5
	v_cvt_f16_f32_e32 v4, v4
	v_cvt_f16_f32_e32 v24, v5
	v_cvt_f32_f16_e32 v5, v4
	v_cvt_f32_f16_e32 v4, v24
	v_cvt_f32_f16_e32 v24, v6
	v_cvt_f32_f16_sdwa v6, v6 dst_sel:DWORD dst_unused:UNUSED_PAD src0_sel:WORD_1
	s_waitcnt vmcnt(16)
	v_pk_fma_f32 v[50:51], v[4:5], v[30:31], v[50:51] op_sel_hi:[1,0,1]
	v_pk_fma_f32 v[12:13], v[4:5], v[24:25], v[12:13] op_sel_hi:[1,0,1]
	s_waitcnt vmcnt(14)
	v_pk_fma_f32 v[52:53], v[4:5], v[34:35], v[52:53] op_sel_hi:[1,0,1]
	s_waitcnt vmcnt(12)
	;; [unrolled: 2-line block ×4, first 2 shown]
	v_pk_fma_f32 v[4:5], v[4:5], v[46:47], v[58:59] op_sel_hi:[1,0,1]
	v_sub_u32_sdwa v58, v2, v93 dst_sel:DWORD dst_unused:UNUSED_PAD src0_sel:BYTE_0 src1_sel:DWORD
	v_sub_u32_sdwa v59, v3, v92 dst_sel:DWORD dst_unused:UNUSED_PAD src0_sel:BYTE_0 src1_sel:DWORD
	v_cvt_f32_i32_e32 v58, v58
	v_cvt_f32_i32_e32 v59, v59
	v_cvt_f16_f32_e32 v58, v58
	v_cvt_f16_f32_e32 v59, v59
	v_cvt_f32_f16_e32 v58, v58
	v_cvt_f32_f16_e32 v59, v59
	v_pk_fma_f32 v[16:17], v[58:59], v[30:31], v[16:17] op_sel_hi:[1,0,1]
	s_waitcnt vmcnt(6)
	v_pk_fma_f32 v[60:61], v[58:59], v[24:25], v[60:61] op_sel_hi:[1,0,1]
	v_sub_u32_sdwa v24, v1, v90 dst_sel:DWORD dst_unused:UNUSED_PAD src0_sel:BYTE_1 src1_sel:DWORD
	v_sub_u32_sdwa v30, v0, v91 dst_sel:DWORD dst_unused:UNUSED_PAD src0_sel:BYTE_1 src1_sel:DWORD
	v_cvt_f32_i32_e32 v24, v24
	v_cvt_f32_i32_e32 v30, v30
	s_waitcnt vmcnt(4)
	v_pk_fma_f32 v[62:63], v[58:59], v[34:35], v[62:63] op_sel_hi:[1,0,1]
	s_waitcnt vmcnt(2)
	v_pk_fma_f32 v[64:65], v[58:59], v[38:39], v[64:65] op_sel_hi:[1,0,1]
	v_cvt_f16_f32_e32 v24, v24
	v_cvt_f16_f32_e32 v30, v30
	v_pk_fma_f32 v[20:21], v[58:59], v[42:43], v[20:21] op_sel_hi:[1,0,1]
	s_waitcnt vmcnt(0)
	v_pk_fma_f32 v[58:59], v[58:59], v[46:47], v[66:67] op_sel_hi:[1,0,1]
	v_cvt_f32_f16_e32 v67, v24
	v_cvt_f32_f16_e32 v66, v30
	v_cvt_f32_f16_sdwa v24, v28 dst_sel:DWORD dst_unused:UNUSED_PAD src0_sel:WORD_1
	v_sub_u32_sdwa v28, v3, v92 dst_sel:DWORD dst_unused:UNUSED_PAD src0_sel:BYTE_1 src1_sel:DWORD
	v_sub_u32_sdwa v30, v2, v93 dst_sel:DWORD dst_unused:UNUSED_PAD src0_sel:BYTE_1 src1_sel:DWORD
	v_cvt_f32_i32_e32 v28, v28
	v_cvt_f32_i32_e32 v30, v30
	v_pk_fma_f32 v[12:13], v[66:67], v[6:7], v[12:13] op_sel_hi:[1,0,1]
	v_pk_fma_f32 v[50:51], v[66:67], v[24:25], v[50:51] op_sel_hi:[1,0,1]
	v_cvt_f16_f32_e32 v28, v28
	v_cvt_f16_f32_e32 v30, v30
	v_pk_fma_f32 v[52:53], v[66:67], v[10:11], v[52:53] op_sel_hi:[1,0,1]
	v_pk_fma_f32 v[54:55], v[66:67], v[14:15], v[54:55] op_sel_hi:[1,0,1]
	;; [unrolled: 1-line block ×4, first 2 shown]
	v_cvt_f32_f16_e32 v67, v28
	v_cvt_f32_f16_e32 v66, v30
	v_sub_u32_sdwa v28, v3, v92 dst_sel:DWORD dst_unused:UNUSED_PAD src0_sel:BYTE_2 src1_sel:DWORD
	v_sub_u32_sdwa v30, v2, v93 dst_sel:DWORD dst_unused:UNUSED_PAD src0_sel:BYTE_2 src1_sel:DWORD
	v_cvt_f32_i32_e32 v28, v28
	v_pk_fma_f32 v[60:61], v[66:67], v[6:7], v[60:61] op_sel_hi:[1,0,1]
	v_pk_fma_f32 v[62:63], v[66:67], v[10:11], v[62:63] op_sel_hi:[1,0,1]
	v_sub_u32_sdwa v6, v1, v90 dst_sel:DWORD dst_unused:UNUSED_PAD src0_sel:BYTE_2 src1_sel:DWORD
	v_sub_u32_sdwa v10, v0, v91 dst_sel:DWORD dst_unused:UNUSED_PAD src0_sel:BYTE_2 src1_sel:DWORD
	v_cvt_f32_i32_e32 v6, v6
	v_cvt_f32_i32_e32 v10, v10
	;; [unrolled: 1-line block ×3, first 2 shown]
	v_pk_fma_f32 v[16:17], v[66:67], v[24:25], v[16:17] op_sel_hi:[1,0,1]
	v_cvt_f16_f32_e32 v6, v6
	v_cvt_f16_f32_e32 v10, v10
	v_pk_fma_f32 v[64:65], v[66:67], v[14:15], v[64:65] op_sel_hi:[1,0,1]
	v_pk_fma_f32 v[20:21], v[66:67], v[18:19], v[20:21] op_sel_hi:[1,0,1]
	;; [unrolled: 1-line block ×3, first 2 shown]
	v_cvt_f32_f16_e32 v67, v6
	v_cvt_f32_f16_e32 v66, v10
	;; [unrolled: 1-line block ×8, first 2 shown]
	v_cvt_f16_f32_e32 v28, v28
	v_cvt_f16_f32_e32 v30, v30
	v_pk_fma_f32 v[12:13], v[66:67], v[6:7], v[12:13] op_sel_hi:[1,0,1]
	v_pk_fma_f32 v[50:51], v[66:67], v[10:11], v[50:51] op_sel_hi:[1,0,1]
	;; [unrolled: 1-line block ×6, first 2 shown]
	v_cvt_f32_f16_e32 v67, v28
	v_cvt_f32_f16_e32 v66, v30
	v_sub_u32_sdwa v1, v1, v90 dst_sel:DWORD dst_unused:UNUSED_PAD src0_sel:BYTE_3 src1_sel:DWORD
	v_cvt_f32_i32_e32 v1, v1
	v_sub_u32_sdwa v3, v3, v92 dst_sel:DWORD dst_unused:UNUSED_PAD src0_sel:BYTE_3 src1_sel:DWORD
	v_pk_fma_f32 v[20:21], v[66:67], v[22:23], v[20:21] op_sel_hi:[1,0,1]
	v_sub_u32_sdwa v22, v0, v91 dst_sel:DWORD dst_unused:UNUSED_PAD src0_sel:BYTE_3 src1_sel:DWORD
	v_pk_fma_f32 v[60:61], v[66:67], v[6:7], v[60:61] op_sel_hi:[1,0,1]
	v_cvt_f32_f16_sdwa v0, v7 dst_sel:DWORD dst_unused:UNUSED_PAD src0_sel:WORD_1
	v_cvt_f32_i32_e32 v7, v22
	v_cvt_f16_f32_e32 v1, v1
	v_pk_fma_f32 v[74:75], v[66:67], v[14:15], v[62:63] op_sel_hi:[1,0,1]
	v_pk_fma_f32 v[58:59], v[66:67], v[24:25], v[58:59] op_sel_hi:[1,0,1]
	v_cvt_f16_f32_e32 v7, v7
	v_sub_u32_sdwa v24, v2, v93 dst_sel:DWORD dst_unused:UNUSED_PAD src0_sel:BYTE_3 src1_sel:DWORD
	v_cvt_f32_f16_sdwa v2, v11 dst_sel:DWORD dst_unused:UNUSED_PAD src0_sel:WORD_1
	v_cvt_f32_f16_sdwa v14, v23 dst_sel:DWORD dst_unused:UNUSED_PAD src0_sel:WORD_1
	v_cvt_f32_f16_e32 v23, v1
	v_cvt_f32_f16_e32 v22, v7
	v_pk_fma_f32 v[80:81], v[66:67], v[18:19], v[64:65] op_sel_hi:[1,0,1]
	v_cvt_f32_f16_sdwa v18, v29 dst_sel:DWORD dst_unused:UNUSED_PAD src0_sel:WORD_1
	v_pk_fma_f32 v[16:17], v[66:67], v[10:11], v[16:17] op_sel_hi:[1,0,1]
	v_pk_fma_f32 v[100:101], v[22:23], v[0:1], v[12:13] op_sel_hi:[1,0,1]
	;; [unrolled: 1-line block ×3, first 2 shown]
	v_cvt_f32_i32_e32 v1, v3
	v_cvt_f32_i32_e32 v3, v24
	v_pk_fma_f32 v[86:87], v[22:23], v[14:15], v[4:5] op_sel_hi:[1,0,1]
	v_cvt_f32_f16_sdwa v6, v15 dst_sel:DWORD dst_unused:UNUSED_PAD src0_sel:WORD_1
	v_cvt_f16_f32_e32 v1, v1
	v_cvt_f16_f32_e32 v3, v3
	v_cvt_f32_f16_sdwa v10, v19 dst_sel:DWORD dst_unused:UNUSED_PAD src0_sel:WORD_1
	v_pk_fma_f32 v[70:71], v[22:23], v[6:7], v[54:55] op_sel_hi:[1,0,1]
	v_cvt_f32_f16_e32 v5, v1
	v_cvt_f32_f16_e32 v4, v3
	v_pk_fma_f32 v[72:73], v[22:23], v[10:11], v[56:57] op_sel_hi:[1,0,1]
	v_cvt_f32_f16_sdwa v28, v43 dst_sel:DWORD dst_unused:UNUSED_PAD src0_sel:WORD_1
	v_pk_fma_f32 v[102:103], v[22:23], v[18:19], v[50:51] op_sel_hi:[1,0,1]
	v_pk_fma_f32 v[12:13], v[4:5], v[18:19], v[16:17] op_sel_hi:[1,0,1]
	buffer_store_dword v12, off, s[28:31], 0 offset:192 ; 4-byte Folded Spill
	s_nop 0
	buffer_store_dword v13, off, s[28:31], 0 offset:196 ; 4-byte Folded Spill
	v_pk_fma_f32 v[0:1], v[4:5], v[0:1], v[60:61] op_sel_hi:[1,0,1]
	buffer_store_dword v0, off, s[28:31], 0 offset:184 ; 4-byte Folded Spill
	s_nop 0
	buffer_store_dword v1, off, s[28:31], 0 offset:188 ; 4-byte Folded Spill
	;; [unrolled: 4-line block ×6, first 2 shown]
	v_sub_u32_sdwa v0, v76, v91 dst_sel:DWORD dst_unused:UNUSED_PAD src0_sel:BYTE_3 src1_sel:DWORD
	v_sub_u32_sdwa v1, v77, v90 dst_sel:DWORD dst_unused:UNUSED_PAD src0_sel:BYTE_3 src1_sel:DWORD
	v_cvt_f32_i32_e32 v1, v1
	v_cvt_f32_i32_e32 v0, v0
	v_cvt_f32_f16_sdwa v2, v25 dst_sel:DWORD dst_unused:UNUSED_PAD src0_sel:WORD_1
	v_cvt_f32_f16_sdwa v4, v47 dst_sel:DWORD dst_unused:UNUSED_PAD src0_sel:WORD_1
	v_cvt_f16_f32_e32 v1, v1
	v_cvt_f16_f32_e32 v0, v0
	v_cvt_f32_f16_sdwa v6, v31 dst_sel:DWORD dst_unused:UNUSED_PAD src0_sel:WORD_1
	v_cvt_f32_f16_sdwa v10, v35 dst_sel:DWORD dst_unused:UNUSED_PAD src0_sel:WORD_1
	v_cvt_f32_f16_e32 v1, v1
	v_cvt_f32_f16_e32 v0, v0
	v_cvt_f32_f16_sdwa v12, v39 dst_sel:DWORD dst_unused:UNUSED_PAD src0_sel:WORD_1
	v_sub_u32_sdwa v3, v78, v93 dst_sel:DWORD dst_unused:UNUSED_PAD src0_sel:BYTE_3 src1_sel:DWORD
	v_sub_u32_sdwa v5, v79, v92 dst_sel:DWORD dst_unused:UNUSED_PAD src0_sel:BYTE_3 src1_sel:DWORD
	v_pk_fma_f32 v[14:15], v[0:1], v[2:3], v[126:127] op_sel_hi:[1,0,1]
	v_pk_fma_f32 v[16:17], v[0:1], v[4:5], v[122:123] op_sel_hi:[1,0,1]
	;; [unrolled: 1-line block ×5, first 2 shown]
	v_cvt_f32_f16_e32 v42, v48
	v_cvt_f32_f16_e32 v46, v32
	;; [unrolled: 1-line block ×5, first 2 shown]
	v_cvt_f32_f16_sdwa v32, v32 dst_sel:DWORD dst_unused:UNUSED_PAD src0_sel:WORD_1
	v_cvt_f32_f16_sdwa v36, v36 dst_sel:DWORD dst_unused:UNUSED_PAD src0_sel:WORD_1
	v_cvt_f32_f16_sdwa v40, v40 dst_sel:DWORD dst_unused:UNUSED_PAD src0_sel:WORD_1
	v_pk_fma_f32 v[22:23], v[0:1], v[12:13], v[108:109] op_sel_hi:[1,0,1]
	v_cvt_f32_i32_e32 v0, v3
	v_cvt_f32_i32_e32 v1, v5
	v_cvt_f16_f32_e32 v0, v0
	v_cvt_f16_f32_e32 v1, v1
	v_cvt_f32_f16_e32 v30, v0
	v_cvt_f32_f16_e32 v31, v1
	v_pk_fma_f32 v[0:1], v[30:31], v[4:5], v[124:125] op_sel_hi:[1,0,1]
	v_add_co_u32_e32 v4, vcc, s0, v8
	v_addc_co_u32_e32 v5, vcc, v9, v89, vcc
	v_pk_fma_f32 v[2:3], v[30:31], v[2:3], v[112:113] op_sel_hi:[1,0,1]
	v_pk_fma_f32 v[6:7], v[30:31], v[6:7], v[114:115] op_sel_hi:[1,0,1]
	;; [unrolled: 1-line block ×5, first 2 shown]
	global_load_dwordx4 v[28:31], v[4:5], off
	v_add_co_u32_e32 v4, vcc, s0, v4
	v_addc_co_u32_e32 v5, vcc, v5, v89, vcc
	v_add_co_u32_e32 v124, vcc, s0, v4
	v_addc_co_u32_e32 v125, vcc, v5, v89, vcc
	s_waitcnt vmcnt(0)
	v_sub_u32_sdwa v8, v29, v90 dst_sel:DWORD dst_unused:UNUSED_PAD src0_sel:BYTE_0 src1_sel:DWORD
	v_sub_u32_sdwa v9, v28, v91 dst_sel:DWORD dst_unused:UNUSED_PAD src0_sel:BYTE_0 src1_sel:DWORD
	v_cvt_f32_i32_e32 v8, v8
	v_cvt_f32_i32_e32 v9, v9
	v_cvt_f16_f32_e32 v8, v8
	v_cvt_f16_f32_e32 v38, v9
	v_cvt_f32_f16_e32 v9, v8
	v_cvt_f32_f16_e32 v8, v38
	;; [unrolled: 1-line block ×3, first 2 shown]
	v_cvt_f32_f16_sdwa v26, v26 dst_sel:DWORD dst_unused:UNUSED_PAD src0_sel:WORD_1
	v_pk_fma_f32 v[16:17], v[8:9], v[42:43], v[16:17] op_sel_hi:[1,0,1]
	v_pk_fma_f32 v[14:15], v[8:9], v[38:39], v[14:15] op_sel_hi:[1,0,1]
	v_pk_fma_f32 v[18:19], v[8:9], v[46:47], v[18:19] op_sel_hi:[1,0,1]
	v_pk_fma_f32 v[20:21], v[8:9], v[50:51], v[20:21] op_sel_hi:[1,0,1]
	v_pk_fma_f32 v[22:23], v[8:9], v[52:53], v[22:23] op_sel_hi:[1,0,1]
	v_pk_fma_f32 v[8:9], v[8:9], v[54:55], v[24:25] op_sel_hi:[1,0,1]
	v_sub_u32_sdwa v24, v31, v92 dst_sel:DWORD dst_unused:UNUSED_PAD src0_sel:BYTE_0 src1_sel:DWORD
	v_sub_u32_sdwa v25, v30, v93 dst_sel:DWORD dst_unused:UNUSED_PAD src0_sel:BYTE_0 src1_sel:DWORD
	v_cvt_f32_i32_e32 v24, v24
	v_cvt_f32_i32_e32 v25, v25
	v_cvt_f16_f32_e32 v24, v24
	v_cvt_f16_f32_e32 v39, v25
	v_cvt_f32_f16_e32 v25, v24
	v_cvt_f32_f16_e32 v24, v39
	v_pk_fma_f32 v[0:1], v[24:25], v[42:43], v[0:1] op_sel_hi:[1,0,1]
	v_pk_fma_f32 v[2:3], v[24:25], v[38:39], v[2:3] op_sel_hi:[1,0,1]
	;; [unrolled: 1-line block ×6, first 2 shown]
	v_sub_u32_sdwa v24, v29, v90 dst_sel:DWORD dst_unused:UNUSED_PAD src0_sel:BYTE_1 src1_sel:DWORD
	v_sub_u32_sdwa v25, v28, v91 dst_sel:DWORD dst_unused:UNUSED_PAD src0_sel:BYTE_1 src1_sel:DWORD
	v_cvt_f32_i32_e32 v24, v24
	v_cvt_f32_i32_e32 v25, v25
	v_cvt_f32_f16_sdwa v42, v44 dst_sel:DWORD dst_unused:UNUSED_PAD src0_sel:WORD_1
	v_cvt_f16_f32_e32 v24, v24
	v_cvt_f16_f32_e32 v38, v25
	v_cvt_f32_f16_e32 v25, v24
	v_cvt_f32_f16_e32 v24, v38
	v_cvt_f32_f16_sdwa v38, v48 dst_sel:DWORD dst_unused:UNUSED_PAD src0_sel:WORD_1
	v_pk_fma_f32 v[14:15], v[24:25], v[26:27], v[14:15] op_sel_hi:[1,0,1]
	v_pk_fma_f32 v[16:17], v[24:25], v[38:39], v[16:17] op_sel_hi:[1,0,1]
	;; [unrolled: 1-line block ×6, first 2 shown]
	v_sub_u32_sdwa v24, v31, v92 dst_sel:DWORD dst_unused:UNUSED_PAD src0_sel:BYTE_1 src1_sel:DWORD
	v_sub_u32_sdwa v25, v30, v93 dst_sel:DWORD dst_unused:UNUSED_PAD src0_sel:BYTE_1 src1_sel:DWORD
	v_cvt_f32_i32_e32 v24, v24
	v_cvt_f32_i32_e32 v25, v25
	v_cvt_f16_f32_e32 v24, v24
	v_cvt_f16_f32_e32 v39, v25
	v_cvt_f32_f16_e32 v25, v24
	v_cvt_f32_f16_e32 v24, v39
	v_pk_fma_f32 v[0:1], v[24:25], v[38:39], v[0:1] op_sel_hi:[1,0,1]
	v_pk_fma_f32 v[2:3], v[24:25], v[26:27], v[2:3] op_sel_hi:[1,0,1]
	;; [unrolled: 1-line block ×6, first 2 shown]
	v_sub_u32_sdwa v24, v29, v90 dst_sel:DWORD dst_unused:UNUSED_PAD src0_sel:BYTE_2 src1_sel:DWORD
	v_sub_u32_sdwa v25, v28, v91 dst_sel:DWORD dst_unused:UNUSED_PAD src0_sel:BYTE_2 src1_sel:DWORD
	v_cvt_f32_i32_e32 v24, v24
	v_cvt_f32_i32_e32 v25, v25
	v_cvt_f32_f16_e32 v32, v33
	v_cvt_f32_f16_e32 v36, v37
	v_cvt_f16_f32_e32 v24, v24
	v_cvt_f16_f32_e32 v26, v25
	v_cvt_f32_f16_e32 v38, v41
	v_cvt_f32_f16_e32 v40, v45
	;; [unrolled: 1-line block ×6, first 2 shown]
	v_pk_fma_f32 v[18:19], v[24:25], v[32:33], v[18:19] op_sel_hi:[1,0,1]
	v_pk_fma_f32 v[14:15], v[24:25], v[26:27], v[14:15] op_sel_hi:[1,0,1]
	;; [unrolled: 1-line block ×6, first 2 shown]
	v_sub_u32_sdwa v24, v31, v92 dst_sel:DWORD dst_unused:UNUSED_PAD src0_sel:BYTE_2 src1_sel:DWORD
	v_sub_u32_sdwa v25, v30, v93 dst_sel:DWORD dst_unused:UNUSED_PAD src0_sel:BYTE_2 src1_sel:DWORD
	v_cvt_f32_i32_e32 v24, v24
	v_cvt_f32_i32_e32 v25, v25
	v_sub_u32_sdwa v31, v31, v92 dst_sel:DWORD dst_unused:UNUSED_PAD src0_sel:BYTE_3 src1_sel:DWORD
	v_cvt_f16_f32_e32 v24, v24
	v_cvt_f16_f32_e32 v39, v25
	v_cvt_f32_f16_e32 v25, v24
	v_cvt_f32_f16_e32 v24, v39
	v_pk_fma_f32 v[0:1], v[24:25], v[42:43], v[0:1] op_sel_hi:[1,0,1]
	v_pk_fma_f32 v[2:3], v[24:25], v[26:27], v[2:3] op_sel_hi:[1,0,1]
	;; [unrolled: 1-line block ×6, first 2 shown]
	v_sub_u32_sdwa v25, v29, v90 dst_sel:DWORD dst_unused:UNUSED_PAD src0_sel:BYTE_3 src1_sel:DWORD
	v_sub_u32_sdwa v29, v28, v91 dst_sel:DWORD dst_unused:UNUSED_PAD src0_sel:BYTE_3 src1_sel:DWORD
	v_cvt_f32_f16_sdwa v24, v27 dst_sel:DWORD dst_unused:UNUSED_PAD src0_sel:WORD_1
	v_cvt_f32_i32_e32 v25, v25
	v_cvt_f32_i32_e32 v27, v29
	v_cvt_f32_f16_sdwa v32, v45 dst_sel:DWORD dst_unused:UNUSED_PAD src0_sel:WORD_1
	v_sub_u32_sdwa v40, v30, v93 dst_sel:DWORD dst_unused:UNUSED_PAD src0_sel:BYTE_3 src1_sel:DWORD
	v_cvt_f16_f32_e32 v25, v25
	v_cvt_f16_f32_e32 v27, v27
	v_cvt_f32_f16_sdwa v26, v33 dst_sel:DWORD dst_unused:UNUSED_PAD src0_sel:WORD_1
	v_cvt_f32_f16_sdwa v36, v49 dst_sel:DWORD dst_unused:UNUSED_PAD src0_sel:WORD_1
	v_cvt_f32_f16_e32 v39, v25
	v_cvt_f32_f16_e32 v38, v27
	v_cvt_f32_f16_sdwa v28, v37 dst_sel:DWORD dst_unused:UNUSED_PAD src0_sel:WORD_1
	v_cvt_f32_f16_sdwa v30, v41 dst_sel:DWORD dst_unused:UNUSED_PAD src0_sel:WORD_1
	v_pk_fma_f32 v[54:55], v[38:39], v[32:33], v[8:9] op_sel_hi:[1,0,1]
	v_cvt_f32_i32_e32 v8, v31
	v_cvt_f32_i32_e32 v9, v40
	v_pk_fma_f32 v[104:105], v[38:39], v[24:25], v[14:15] op_sel_hi:[1,0,1]
	v_pk_fma_f32 v[78:79], v[38:39], v[26:27], v[18:19] op_sel_hi:[1,0,1]
	v_cvt_f16_f32_e32 v8, v8
	v_cvt_f16_f32_e32 v14, v9
	v_pk_fma_f32 v[76:77], v[38:39], v[28:29], v[20:21] op_sel_hi:[1,0,1]
	v_pk_fma_f32 v[48:49], v[38:39], v[30:31], v[22:23] op_sel_hi:[1,0,1]
	v_cvt_f32_f16_e32 v9, v8
	v_cvt_f32_f16_e32 v8, v14
	v_pk_fma_f32 v[46:47], v[38:39], v[36:37], v[16:17] op_sel_hi:[1,0,1]
	v_pk_fma_f32 v[64:65], v[8:9], v[36:37], v[0:1] op_sel_hi:[1,0,1]
	;; [unrolled: 1-line block ×3, first 2 shown]
	buffer_store_dword v0, off, s[28:31], 0 offset:224 ; 4-byte Folded Spill
	s_nop 0
	buffer_store_dword v1, off, s[28:31], 0 offset:228 ; 4-byte Folded Spill
	v_pk_fma_f32 v[0:1], v[8:9], v[28:29], v[34:35] op_sel_hi:[1,0,1]
	buffer_store_dword v0, off, s[28:31], 0 offset:216 ; 4-byte Folded Spill
	s_nop 0
	buffer_store_dword v1, off, s[28:31], 0 offset:220 ; 4-byte Folded Spill
	v_pk_fma_f32 v[0:1], v[8:9], v[30:31], v[10:11] op_sel_hi:[1,0,1]
	;; [unrolled: 4-line block ×4, first 2 shown]
	global_load_dwordx4 v[0:3], v[124:125], off
	ds_read_b128 v[12:15], v88 offset:560
	ds_read_b128 v[16:19], v88 offset:816
	;; [unrolled: 1-line block ×3, first 2 shown]
	s_waitcnt lgkmcnt(2)
	v_cvt_f32_f16_e32 v114, v12
	s_waitcnt lgkmcnt(1)
	v_cvt_f32_f16_e32 v120, v16
	;; [unrolled: 2-line block ×3, first 2 shown]
	s_waitcnt vmcnt(0)
	v_sub_u32_sdwa v36, v0, v91 dst_sel:DWORD dst_unused:UNUSED_PAD src0_sel:BYTE_0 src1_sel:DWORD
	v_sub_u32_sdwa v45, v1, v90 dst_sel:DWORD dst_unused:UNUSED_PAD src0_sel:BYTE_0 src1_sel:DWORD
	v_sub_u32_sdwa v38, v1, v90 dst_sel:DWORD dst_unused:UNUSED_PAD src0_sel:BYTE_1 src1_sel:DWORD
	v_sub_u32_sdwa v40, v0, v91 dst_sel:DWORD dst_unused:UNUSED_PAD src0_sel:BYTE_1 src1_sel:DWORD
	v_sub_u32_sdwa v44, v1, v90 dst_sel:DWORD dst_unused:UNUSED_PAD src0_sel:BYTE_2 src1_sel:DWORD
	v_sub_u32_sdwa v42, v0, v91 dst_sel:DWORD dst_unused:UNUSED_PAD src0_sel:BYTE_2 src1_sel:DWORD
	v_sub_u32_sdwa v35, v1, v90 dst_sel:DWORD dst_unused:UNUSED_PAD src0_sel:BYTE_3 src1_sel:DWORD
	v_sub_u32_sdwa v57, v0, v91 dst_sel:DWORD dst_unused:UNUSED_PAD src0_sel:BYTE_3 src1_sel:DWORD
	v_sub_u32_sdwa v53, v2, v93 dst_sel:DWORD dst_unused:UNUSED_PAD src0_sel:BYTE_0 src1_sel:DWORD
	v_sub_u32_sdwa v51, v3, v92 dst_sel:DWORD dst_unused:UNUSED_PAD src0_sel:BYTE_0 src1_sel:DWORD
	v_sub_u32_sdwa v121, v3, v92 dst_sel:DWORD dst_unused:UNUSED_PAD src0_sel:BYTE_1 src1_sel:DWORD
	v_sub_u32_sdwa v123, v2, v93 dst_sel:DWORD dst_unused:UNUSED_PAD src0_sel:BYTE_1 src1_sel:DWORD
	v_sub_u32_sdwa v117, v3, v92 dst_sel:DWORD dst_unused:UNUSED_PAD src0_sel:BYTE_2 src1_sel:DWORD
	v_sub_u32_sdwa v119, v2, v93 dst_sel:DWORD dst_unused:UNUSED_PAD src0_sel:BYTE_2 src1_sel:DWORD
	v_sub_u32_sdwa v113, v3, v92 dst_sel:DWORD dst_unused:UNUSED_PAD src0_sel:BYTE_3 src1_sel:DWORD
	v_sub_u32_sdwa v115, v2, v93 dst_sel:DWORD dst_unused:UNUSED_PAD src0_sel:BYTE_3 src1_sel:DWORD
	global_load_dwordx4 v[0:3], v[4:5], off
	s_waitcnt vmcnt(0)
	v_sub_u32_sdwa v5, v1, v90 dst_sel:DWORD dst_unused:UNUSED_PAD src0_sel:BYTE_0 src1_sel:DWORD
	v_sub_u32_sdwa v6, v1, v90 dst_sel:DWORD dst_unused:UNUSED_PAD src0_sel:BYTE_1 src1_sel:DWORD
	v_sub_u32_sdwa v39, v1, v90 dst_sel:DWORD dst_unused:UNUSED_PAD src0_sel:BYTE_2 src1_sel:DWORD
	v_sub_u32_sdwa v37, v1, v90 dst_sel:DWORD dst_unused:UNUSED_PAD src0_sel:BYTE_3 src1_sel:DWORD
	v_cvt_f32_i32_e32 v1, v5
	v_sub_u32_sdwa v4, v0, v91 dst_sel:DWORD dst_unused:UNUSED_PAD src0_sel:BYTE_0 src1_sel:DWORD
	v_sub_u32_sdwa v32, v0, v91 dst_sel:DWORD dst_unused:UNUSED_PAD src0_sel:BYTE_2 src1_sel:DWORD
	v_sub_u32_sdwa v33, v0, v91 dst_sel:DWORD dst_unused:UNUSED_PAD src0_sel:BYTE_3 src1_sel:DWORD
	v_cvt_f16_f32_e32 v1, v1
	v_sub_u32_sdwa v0, v0, v91 dst_sel:DWORD dst_unused:UNUSED_PAD src0_sel:BYTE_1 src1_sel:DWORD
	v_sub_u32_sdwa v91, v2, v93 dst_sel:DWORD dst_unused:UNUSED_PAD src0_sel:BYTE_2 src1_sel:DWORD
	v_sub_u32_sdwa v90, v2, v93 dst_sel:DWORD dst_unused:UNUSED_PAD src0_sel:BYTE_3 src1_sel:DWORD
	v_sub_u32_sdwa v28, v2, v93 dst_sel:DWORD dst_unused:UNUSED_PAD src0_sel:BYTE_0 src1_sel:DWORD
	v_sub_u32_sdwa v29, v2, v93 dst_sel:DWORD dst_unused:UNUSED_PAD src0_sel:BYTE_1 src1_sel:DWORD
	v_cvt_f32_i32_e32 v2, v4
	v_cvt_f32_f16_e32 v107, v1
	v_cvt_f32_i32_e32 v1, v6
	v_cvt_f32_i32_e32 v0, v0
	v_cvt_f16_f32_e32 v2, v2
	ds_read_b128 v[4:7], v88 offset:48
	v_cvt_f16_f32_e32 v1, v1
	v_cvt_f16_f32_e32 v0, v0
	v_cvt_f32_f16_e32 v106, v2
	v_cvt_f32_i32_e32 v28, v28
	v_cvt_f32_f16_e32 v109, v1
	v_cvt_f32_f16_e32 v108, v0
	s_waitcnt lgkmcnt(0)
	v_cvt_f32_f16_e32 v116, v4
	v_cvt_f32_f16_sdwa v118, v4 dst_sel:DWORD dst_unused:UNUSED_PAD src0_sel:WORD_1
	v_cvt_f32_f16_sdwa v4, v8 dst_sel:DWORD dst_unused:UNUSED_PAD src0_sel:WORD_1
	;; [unrolled: 1-line block ×4, first 2 shown]
	v_pk_fma_f32 v[20:21], v[106:107], v[120:121], 0 op_sel_hi:[1,0,0]
	v_sub_u32_sdwa v43, v3, v92 dst_sel:DWORD dst_unused:UNUSED_PAD src0_sel:BYTE_0 src1_sel:DWORD
	v_cvt_f32_i32_e32 v30, v43
	v_pk_fma_f32 v[80:81], v[108:109], v[12:13], v[20:21] op_sel_hi:[1,0,1]
	ds_read_b128 v[20:23], v88 offset:1072
	v_cvt_f16_f32_e32 v28, v28
	v_sub_u32_sdwa v41, v3, v92 dst_sel:DWORD dst_unused:UNUSED_PAD src0_sel:BYTE_1 src1_sel:DWORD
	v_cvt_f16_f32_e32 v30, v30
	v_cvt_f32_i32_e32 v29, v29
	s_waitcnt lgkmcnt(0)
	v_cvt_f32_f16_e32 v122, v20
	v_cvt_f32_f16_sdwa v16, v20 dst_sel:DWORD dst_unused:UNUSED_PAD src0_sel:WORD_1
	v_cvt_f32_f16_e32 v96, v28
	v_cvt_f32_i32_e32 v28, v41
	v_pk_fma_f32 v[24:25], v[106:107], v[122:123], 0 op_sel_hi:[1,0,0]
	v_pk_fma_f32 v[82:83], v[108:109], v[16:17], v[24:25] op_sel_hi:[1,0,1]
	ds_read_b128 v[24:27], v88 offset:1328
	v_cvt_f32_f16_e32 v97, v30
	v_cvt_f16_f32_e32 v28, v28
	v_cvt_f16_f32_e32 v30, v29
	v_pk_fma_f32 v[0:1], v[106:107], v[116:117], 0 op_sel_hi:[1,0,0]
	s_waitcnt lgkmcnt(0)
	v_cvt_f32_f16_e32 v20, v24
	v_cvt_f32_f16_sdwa v24, v24 dst_sel:DWORD dst_unused:UNUSED_PAD src0_sel:WORD_1
	v_cvt_f32_f16_e32 v29, v28
	v_cvt_f32_f16_e32 v28, v30
	v_sub_u32_sdwa v93, v3, v92 dst_sel:DWORD dst_unused:UNUSED_PAD src0_sel:BYTE_2 src1_sel:DWORD
	v_sub_u32_sdwa v92, v3, v92 dst_sel:DWORD dst_unused:UNUSED_PAD src0_sel:BYTE_3 src1_sel:DWORD
	v_pk_fma_f32 v[110:111], v[108:109], v[118:119], v[0:1] op_sel_hi:[1,0,1]
	v_pk_fma_f32 v[0:1], v[106:107], v[112:113], 0 op_sel_hi:[1,0,0]
	;; [unrolled: 1-line block ×11, first 2 shown]
	v_cvt_f32_i32_e32 v4, v39
	v_cvt_f32_i32_e32 v8, v32
	;; [unrolled: 1-line block ×4, first 2 shown]
	v_cvt_f16_f32_e32 v4, v4
	v_cvt_f16_f32_e32 v8, v8
	v_pk_fma_f32 v[98:99], v[96:97], v[116:117], 0 op_sel_hi:[1,0,0]
	v_pk_fma_f32 v[74:75], v[96:97], v[120:121], 0 op_sel_hi:[1,0,0]
	;; [unrolled: 1-line block ×8, first 2 shown]
	v_cvt_f32_f16_e32 v97, v4
	v_cvt_f32_f16_e32 v96, v8
	;; [unrolled: 1-line block ×8, first 2 shown]
	v_cvt_f16_f32_e32 v30, v30
	v_cvt_f16_f32_e32 v32, v32
	v_pk_fma_f32 v[110:111], v[96:97], v[4:5], v[110:111] op_sel_hi:[1,0,1]
	v_pk_fma_f32 v[0:1], v[96:97], v[8:9], v[0:1] op_sel_hi:[1,0,1]
	;; [unrolled: 1-line block ×6, first 2 shown]
	v_cvt_f32_f16_e32 v96, v30
	v_cvt_f32_f16_e32 v97, v32
	v_cvt_f32_f16_sdwa v88, v25 dst_sel:DWORD dst_unused:UNUSED_PAD src0_sel:WORD_1
	v_cvt_f32_f16_e32 v112, v14
	v_cvt_f32_f16_sdwa v114, v14 dst_sel:DWORD dst_unused:UNUSED_PAD src0_sel:WORD_1
	v_pk_fma_f32 v[98:99], v[96:97], v[4:5], v[98:99] op_sel_hi:[1,0,1]
	v_pk_fma_f32 v[106:107], v[96:97], v[8:9], v[106:107] op_sel_hi:[1,0,1]
	v_cvt_f32_i32_e32 v4, v37
	v_cvt_f32_i32_e32 v8, v33
	v_pk_fma_f32 v[108:109], v[96:97], v[12:13], v[108:109] op_sel_hi:[1,0,1]
	v_pk_fma_f32 v[74:75], v[96:97], v[16:17], v[74:75] op_sel_hi:[1,0,1]
	v_cvt_f16_f32_e32 v4, v4
	v_cvt_f16_f32_e32 v8, v8
	v_pk_fma_f32 v[84:85], v[96:97], v[20:21], v[84:85] op_sel_hi:[1,0,1]
	v_pk_fma_f32 v[28:29], v[96:97], v[24:25], v[28:29] op_sel_hi:[1,0,1]
	v_cvt_f32_f16_e32 v33, v4
	v_cvt_f32_f16_e32 v32, v8
	v_cvt_f32_f16_sdwa v4, v5 dst_sel:DWORD dst_unused:UNUSED_PAD src0_sel:WORD_1
	v_cvt_f32_f16_sdwa v8, v9 dst_sel:DWORD dst_unused:UNUSED_PAD src0_sel:WORD_1
	;; [unrolled: 1-line block ×3, first 2 shown]
	v_pk_fma_f32 v[94:95], v[32:33], v[88:89], v[94:95] op_sel_hi:[1,0,1]
	v_pk_fma_f32 v[96:97], v[32:33], v[4:5], v[110:111] op_sel_hi:[1,0,1]
	;; [unrolled: 1-line block ×3, first 2 shown]
	v_cvt_f32_f16_sdwa v0, v13 dst_sel:DWORD dst_unused:UNUSED_PAD src0_sel:WORD_1
	v_cvt_f32_f16_e32 v116, v15
	v_cvt_f32_f16_sdwa v118, v15 dst_sel:DWORD dst_unused:UNUSED_PAD src0_sel:WORD_1
	v_cvt_f32_f16_e32 v120, v18
	v_pk_fma_f32 v[12:13], v[32:33], v[0:1], v[2:3] op_sel_hi:[1,0,1]
	v_cvt_f32_f16_sdwa v2, v17 dst_sel:DWORD dst_unused:UNUSED_PAD src0_sel:WORD_1
	v_cvt_f32_i32_e32 v1, v92
	v_cvt_f32_f16_e32 v50, v22
	v_cvt_f32_f16_e32 v58, v26
	v_pk_fma_f32 v[16:17], v[32:33], v[2:3], v[80:81] op_sel_hi:[1,0,1]
	v_cvt_f32_i32_e32 v3, v90
	v_cvt_f16_f32_e32 v1, v1
	v_pk_fma_f32 v[80:81], v[32:33], v[20:21], v[82:83] op_sel_hi:[1,0,1]
	v_cvt_f32_f16_sdwa v122, v18 dst_sel:DWORD dst_unused:UNUSED_PAD src0_sel:WORD_1
	v_cvt_f16_f32_e32 v3, v3
	v_cvt_f32_f16_e32 v91, v1
	v_cvt_f32_f16_sdwa v62, v26 dst_sel:DWORD dst_unused:UNUSED_PAD src0_sel:WORD_1
	v_cvt_f32_f16_e32 v52, v23
	v_cvt_f32_f16_e32 v90, v3
	v_cvt_f32_f16_sdwa v56, v23 dst_sel:DWORD dst_unused:UNUSED_PAD src0_sel:WORD_1
	v_cvt_f32_f16_e32 v34, v27
	v_cvt_f32_f16_sdwa v60, v27 dst_sel:DWORD dst_unused:UNUSED_PAD src0_sel:WORD_1
	v_pk_fma_f32 v[30:31], v[90:91], v[20:21], v[84:85] op_sel_hi:[1,0,1]
	buffer_load_dword v20, off, s[28:31], 0 offset:48 ; 4-byte Folded Reload
	buffer_load_dword v21, off, s[28:31], 0 offset:52 ; 4-byte Folded Reload
	v_pk_fma_f32 v[24:25], v[90:91], v[2:3], v[74:75] op_sel_hi:[1,0,1]
	v_pk_fma_f32 v[126:127], v[90:91], v[88:89], v[28:29] op_sel_hi:[1,0,1]
	v_cvt_f32_f16_e32 v28, v6
	v_cvt_f32_f16_sdwa v74, v6 dst_sel:DWORD dst_unused:UNUSED_PAD src0_sel:WORD_1
	v_cvt_f32_f16_e32 v84, v7
	v_cvt_f32_f16_sdwa v88, v7 dst_sel:DWORD dst_unused:UNUSED_PAD src0_sel:WORD_1
	buffer_load_dword v6, off, s[28:31], 0 offset:136 ; 4-byte Folded Reload
	buffer_load_dword v7, off, s[28:31], 0 offset:140 ; 4-byte Folded Reload
	v_pk_fma_f32 v[32:33], v[90:91], v[0:1], v[108:109] op_sel_hi:[1,0,1]
	v_cvt_f32_i32_e32 v1, v45
	v_cvt_f32_i32_e32 v3, v36
	v_pk_fma_f32 v[92:93], v[90:91], v[4:5], v[98:99] op_sel_hi:[1,0,1]
	v_pk_fma_f32 v[82:83], v[90:91], v[8:9], v[106:107] op_sel_hi:[1,0,1]
	v_cvt_f16_f32_e32 v1, v1
	v_cvt_f16_f32_e32 v3, v3
	v_cvt_f32_f16_e32 v90, v10
	v_cvt_f32_f16_sdwa v98, v10 dst_sel:DWORD dst_unused:UNUSED_PAD src0_sel:WORD_1
	v_cvt_f32_f16_e32 v15, v1
	v_cvt_f32_f16_e32 v14, v3
	v_cvt_f32_i32_e32 v1, v38
	v_cvt_f32_i32_e32 v3, v40
	v_cvt_f32_f16_sdwa v4, v22 dst_sel:DWORD dst_unused:UNUSED_PAD src0_sel:WORD_1
	v_cvt_f32_f16_e32 v0, v19
	v_cvt_f16_f32_e32 v1, v1
	v_cvt_f16_f32_e32 v3, v3
	v_cvt_f32_f16_sdwa v2, v19 dst_sel:DWORD dst_unused:UNUSED_PAD src0_sel:WORD_1
	v_pk_fma_f32 v[18:19], v[14:15], v[28:29], v[96:97] op_sel_hi:[1,0,1]
	v_cvt_f32_f16_e32 v37, v1
	v_cvt_f32_f16_e32 v36, v3
	v_cvt_f32_i32_e32 v1, v44
	v_cvt_f32_i32_e32 v3, v42
	v_pk_fma_f32 v[22:23], v[14:15], v[90:91], v[110:111] op_sel_hi:[1,0,1]
	v_pk_fma_f32 v[12:13], v[14:15], v[112:113], v[12:13] op_sel_hi:[1,0,1]
	v_cvt_f16_f32_e32 v1, v1
	v_cvt_f16_f32_e32 v3, v3
	v_pk_fma_f32 v[16:17], v[14:15], v[120:121], v[16:17] op_sel_hi:[1,0,1]
	v_pk_fma_f32 v[26:27], v[14:15], v[50:51], v[80:81] op_sel_hi:[1,0,1]
	v_pk_fma_f32 v[14:15], v[14:15], v[58:59], v[94:95] op_sel_hi:[1,0,1]
	v_pk_fma_f32 v[18:19], v[36:37], v[74:75], v[18:19] op_sel_hi:[1,0,1]
	v_pk_fma_f32 v[22:23], v[36:37], v[98:99], v[22:23] op_sel_hi:[1,0,1]
	v_pk_fma_f32 v[12:13], v[36:37], v[114:115], v[12:13] op_sel_hi:[1,0,1]
	v_pk_fma_f32 v[16:17], v[36:37], v[122:123], v[16:17] op_sel_hi:[1,0,1]
	v_pk_fma_f32 v[26:27], v[36:37], v[4:5], v[26:27] op_sel_hi:[1,0,1]
	v_pk_fma_f32 v[14:15], v[36:37], v[62:63], v[14:15] op_sel_hi:[1,0,1]
	v_cvt_f32_f16_e32 v37, v1
	v_cvt_f32_f16_e32 v36, v3
	v_cvt_f32_i32_e32 v3, v57
	v_cvt_f32_f16_e32 v106, v11
	v_cvt_f32_f16_sdwa v108, v11 dst_sel:DWORD dst_unused:UNUSED_PAD src0_sel:WORD_1
	v_pk_fma_f32 v[16:17], v[36:37], v[0:1], v[16:17] op_sel_hi:[1,0,1]
	v_cvt_f32_i32_e32 v1, v35
	v_cvt_f16_f32_e32 v3, v3
	v_pk_fma_f32 v[18:19], v[36:37], v[84:85], v[18:19] op_sel_hi:[1,0,1]
	v_pk_fma_f32 v[22:23], v[36:37], v[106:107], v[22:23] op_sel_hi:[1,0,1]
	v_cvt_f16_f32_e32 v1, v1
	v_pk_fma_f32 v[12:13], v[36:37], v[116:117], v[12:13] op_sel_hi:[1,0,1]
	v_pk_fma_f32 v[26:27], v[36:37], v[52:53], v[26:27] op_sel_hi:[1,0,1]
	;; [unrolled: 1-line block ×3, first 2 shown]
	v_cvt_f32_f16_e32 v37, v1
	v_cvt_f32_f16_e32 v36, v3
	v_cvt_f32_i32_e32 v1, v51
	v_pk_fma_f32 v[18:19], v[36:37], v[88:89], v[18:19] op_sel_hi:[1,0,1]
	v_pk_fma_f32 v[22:23], v[36:37], v[108:109], v[22:23] op_sel_hi:[1,0,1]
	;; [unrolled: 1-line block ×6, first 2 shown]
	v_cvt_f32_i32_e32 v3, v53
	v_cvt_f16_f32_e32 v1, v1
	v_cvt_f16_f32_e32 v3, v3
	s_waitcnt vmcnt(3)
	v_cvt_f32_f16_sdwa v37, v20 dst_sel:DWORD dst_unused:UNUSED_PAD src0_sel:WORD_1
	v_cvt_f32_f16_e32 v36, v20
	v_pk_mul_f32 v[42:43], v[100:101], v[36:37]
	v_pk_mul_f32 v[80:81], v[102:103], v[36:37]
	s_waitcnt vmcnt(0)
	v_pk_mul_f32 v[38:39], v[6:7], v[36:37]
	buffer_load_dword v6, off, s[28:31], 0 offset:144 ; 4-byte Folded Reload
	buffer_load_dword v7, off, s[28:31], 0 offset:148 ; 4-byte Folded Reload
	v_pk_mul_f32 v[8:9], v[12:13], v[36:37]
	v_cvt_f32_f16_e32 v13, v1
	v_cvt_f32_f16_e32 v12, v3
	v_cvt_f32_i32_e32 v1, v121
	v_cvt_f32_i32_e32 v3, v123
	v_pk_mul_f32 v[94:95], v[104:105], v[36:37]
	v_pk_mul_f32 v[68:69], v[68:69], v[36:37]
	v_cvt_f16_f32_e32 v1, v1
	v_cvt_f16_f32_e32 v3, v3
	v_pk_mul_f32 v[78:79], v[78:79], v[36:37]
	v_pk_mul_f32 v[70:71], v[70:71], v[36:37]
	;; [unrolled: 1-line block ×11, first 2 shown]
	v_pk_fma_f32 v[16:17], v[12:13], v[28:29], v[92:93] op_sel_hi:[1,0,1]
	v_pk_fma_f32 v[24:25], v[12:13], v[120:121], v[24:25] op_sel_hi:[1,0,1]
	s_waitcnt vmcnt(0)
	v_pk_mul_f32 v[40:41], v[6:7], v[36:37]
	buffer_load_dword v6, off, s[28:31], 0 offset:128 ; 4-byte Folded Reload
	buffer_load_dword v7, off, s[28:31], 0 offset:132 ; 4-byte Folded Reload
	s_waitcnt vmcnt(0)
	v_pk_mul_f32 v[96:97], v[6:7], v[36:37]
	buffer_load_dword v6, off, s[28:31], 0 offset:120 ; 4-byte Folded Reload
	buffer_load_dword v7, off, s[28:31], 0 offset:124 ; 4-byte Folded Reload
	;; [unrolled: 4-line block ×4, first 2 shown]
	buffer_load_dword v35, off, s[28:31], 0 offset:20 ; 4-byte Folded Reload
	s_waitcnt vmcnt(1)
	v_pk_mul_f32 v[110:111], v[6:7], v[36:37]
	v_pk_mul_f32 v[6:7], v[22:23], v[36:37]
	;; [unrolled: 1-line block ×3, first 2 shown]
	v_cvt_f32_f16_e32 v15, v1
	v_cvt_f32_f16_e32 v14, v3
	v_cvt_f32_i32_e32 v1, v117
	v_cvt_f32_i32_e32 v3, v119
	v_cvt_f16_f32_e32 v7, v7
	v_pk_fma_f32 v[18:19], v[14:15], v[74:75], v[16:17] op_sel_hi:[1,0,1]
	v_cvt_f16_f32_e32 v1, v1
	v_cvt_f16_f32_e32 v3, v3
	v_pk_fma_f32 v[24:25], v[14:15], v[122:123], v[24:25] op_sel_hi:[1,0,1]
	v_cvt_f16_f32_e32 v6, v6
	v_cvt_f32_f16_e32 v17, v1
	v_cvt_f32_f16_e32 v16, v3
	v_cvt_f32_i32_e32 v1, v113
	v_cvt_f32_i32_e32 v3, v115
	v_pk_fma_f32 v[22:23], v[16:17], v[84:85], v[18:19] op_sel_hi:[1,0,1]
	v_cvt_f16_f32_e32 v1, v1
	v_cvt_f16_f32_e32 v3, v3
	v_cvt_f32_f16_e32 v19, v1
	v_cvt_f32_f16_e32 v18, v3
	v_pk_fma_f32 v[0:1], v[16:17], v[0:1], v[24:25] op_sel_hi:[1,0,1]
	v_pk_fma_f32 v[24:25], v[18:19], v[2:3], v[0:1] op_sel_hi:[1,0,1]
	;; [unrolled: 1-line block ×5, first 2 shown]
	v_cvt_f16_f32_e32 v0, v39
	v_cvt_f16_f32_e32 v1, v38
	buffer_load_dword v31, off, s[28:31], 0 offset:12 ; 4-byte Folded Reload
	v_pk_fma_f32 v[26:27], v[18:19], v[88:89], v[22:23] op_sel_hi:[1,0,1]
	v_pk_fma_f32 v[22:23], v[12:13], v[90:91], v[82:83] op_sel_hi:[1,0,1]
	v_pack_b32_f16 v0, v1, v0
	buffer_load_dword v1, off, s[28:31], 0 offset:44 ; 4-byte Folded Reload
	v_pk_fma_f32 v[22:23], v[14:15], v[98:99], v[22:23] op_sel_hi:[1,0,1]
	v_pk_fma_f32 v[22:23], v[16:17], v[106:107], v[22:23] op_sel_hi:[1,0,1]
	v_pk_fma_f32 v[28:29], v[18:19], v[108:109], v[22:23] op_sel_hi:[1,0,1]
	v_pk_fma_f32 v[22:23], v[12:13], v[112:113], v[32:33] op_sel_hi:[1,0,1]
	buffer_load_dword v32, off, s[28:31], 0 offset:36 ; 4-byte Folded Reload
	v_cvt_f16_f32_e32 v2, v41
	v_cvt_f16_f32_e32 v3, v40
	v_cvt_f16_f32_e32 v4, v81
	v_cvt_f16_f32_e32 v5, v80
	v_cvt_f16_f32_e32 v33, v102
	v_cvt_f16_f32_e32 v38, v44
	v_pk_fma_f32 v[22:23], v[14:15], v[114:115], v[22:23] op_sel_hi:[1,0,1]
	v_pk_fma_f32 v[22:23], v[16:17], v[116:117], v[22:23] op_sel_hi:[1,0,1]
	;; [unrolled: 1-line block ×3, first 2 shown]
	s_waitcnt vmcnt(1)
	v_pk_add_f16 v0, v1, v0
	v_pack_b32_f16 v1, v3, v2
	v_cvt_f16_f32_e32 v2, v43
	v_cvt_f16_f32_e32 v3, v42
	v_pk_add_f16 v1, v31, v1
	v_cvt_f16_f32_e32 v31, v96
	v_pack_b32_f16 v2, v3, v2
	v_pk_add_f16 v0, v0, v2
	v_pack_b32_f16 v2, v5, v4
	v_cvt_f16_f32_e32 v3, v95
	v_cvt_f16_f32_e32 v4, v94
	v_cvt_f16_f32_e32 v5, v97
	v_pk_add_f16 v1, v1, v2
	v_pack_b32_f16 v2, v4, v3
	v_cvt_f16_f32_e32 v3, v69
	v_cvt_f16_f32_e32 v4, v68
	v_pk_add_f16 v0, v0, v2
	v_pack_b32_f16 v2, v31, v5
	v_cvt_f16_f32_e32 v5, v79
	v_cvt_f16_f32_e32 v31, v78
	s_waitcnt vmcnt(0)
	v_pk_add_f16 v2, v32, v2
	v_pack_b32_f16 v3, v4, v3
	v_pk_add_f16 v2, v2, v3
	v_pack_b32_f16 v3, v31, v5
	v_cvt_f16_f32_e32 v4, v101
	v_cvt_f16_f32_e32 v5, v100
	v_pk_add_f16 v2, v2, v3
	v_cvt_f16_f32_e32 v31, v71
	v_cvt_f16_f32_e32 v32, v70
	v_pack_b32_f16 v3, v5, v4
	buffer_load_dword v4, off, s[28:31], 0 offset:28 ; 4-byte Folded Reload
	v_cvt_f16_f32_e32 v5, v77
	s_waitcnt vmcnt(0)
	v_pk_add_f16 v3, v4, v3
	v_pack_b32_f16 v4, v32, v31
	v_cvt_f16_f32_e32 v31, v76
	v_cvt_f16_f32_e32 v32, v103
	v_pk_add_f16 v3, v3, v4
	v_pack_b32_f16 v4, v31, v5
	v_cvt_f16_f32_e32 v5, v73
	v_cvt_f16_f32_e32 v31, v72
	;; [unrolled: 4-line block ×3, first 2 shown]
	v_pk_add_f16 v4, v35, v4
	v_pack_b32_f16 v5, v31, v5
	v_pk_add_f16 v4, v4, v5
	v_pack_b32_f16 v5, v33, v32
	v_cvt_f16_f32_e32 v31, v111
	v_cvt_f16_f32_e32 v32, v110
	v_pk_add_f16 v4, v4, v5
	v_cvt_f16_f32_e32 v33, v87
	v_cvt_f16_f32_e32 v35, v86
	v_pack_b32_f16 v5, v32, v31
	buffer_load_dword v31, off, s[28:31], 0 offset:4 ; 4-byte Folded Reload
	v_cvt_f16_f32_e32 v32, v55
	s_waitcnt vmcnt(0)
	v_pk_add_f16 v5, v31, v5
	v_pack_b32_f16 v31, v35, v33
	v_cvt_f16_f32_e32 v33, v54
	v_cvt_f16_f32_e32 v35, v45
	v_pk_add_f16 v5, v5, v31
	v_pack_b32_f16 v31, v33, v32
	v_cvt_f16_f32_e32 v32, v47
	v_cvt_f16_f32_e32 v33, v46
	v_pk_add_f16 v5, v5, v31
	v_pack_b32_f16 v31, v38, v35
	v_pk_add_f16 v31, v1, v31
	v_pack_b32_f16 v1, v33, v32
	;; [unrolled: 2-line block ×3, first 2 shown]
	v_cvt_f16_f32_e32 v1, v9
	v_cvt_f16_f32_e32 v6, v8
	v_pk_add_f16 v39, v2, v0
	v_cvt_f16_f32_e32 v2, v49
	v_cvt_f16_f32_e32 v7, v11
	v_pack_b32_f16 v0, v6, v1
	v_pk_add_f16 v38, v3, v0
	v_cvt_f16_f32_e32 v3, v48
	v_cvt_f16_f32_e32 v8, v10
	v_cvt_f32_f16_sdwa v1, v21 dst_sel:DWORD dst_unused:UNUSED_PAD src0_sel:WORD_1
	v_cvt_f16_f32_e32 v6, v37
	v_pack_b32_f16 v2, v3, v2
	v_pk_add_f16 v32, v5, v2
	buffer_load_dword v2, off, s[28:31], 0 offset:96 ; 4-byte Folded Reload
	buffer_load_dword v3, off, s[28:31], 0 offset:100 ; 4-byte Folded Reload
	v_pack_b32_f16 v0, v8, v7
	v_pk_add_f16 v35, v4, v0
	v_cvt_f32_f16_e32 v0, v21
	v_cvt_f16_f32_e32 v7, v36
	v_pack_b32_f16 v4, v7, v6
	v_pk_add_f16 v33, v31, v4
	s_waitcnt vmcnt(0)
	v_pk_mul_f32 v[2:3], v[2:3], v[0:1]
	v_cvt_f16_f32_e32 v5, v3
	v_cvt_f16_f32_e32 v6, v2
	buffer_load_dword v2, off, s[28:31], 0 offset:192 ; 4-byte Folded Reload
	buffer_load_dword v3, off, s[28:31], 0 offset:196 ; 4-byte Folded Reload
	v_pack_b32_f16 v4, v6, v5
	buffer_load_dword v5, off, s[28:31], 0 offset:8 ; 4-byte Folded Reload
	s_waitcnt vmcnt(1)
	v_pk_mul_f32 v[2:3], v[2:3], v[0:1]
	v_cvt_f16_f32_e32 v3, v3
	v_cvt_f16_f32_e32 v2, v2
	s_waitcnt vmcnt(0)
	v_pk_add_f16 v4, v5, v4
	v_pack_b32_f16 v5, v2, v3
	v_pk_mul_f32 v[2:3], v[64:65], v[0:1]
	v_cvt_f16_f32_e32 v6, v3
	v_cvt_f16_f32_e32 v7, v2
	buffer_load_dword v2, off, s[28:31], 0 offset:88 ; 4-byte Folded Reload
	buffer_load_dword v3, off, s[28:31], 0 offset:92 ; 4-byte Folded Reload
	v_pk_add_f16 v4, v4, v5
	v_pack_b32_f16 v5, v7, v6
	v_pk_add_f16 v4, v4, v5
	s_waitcnt vmcnt(0)
	v_pk_mul_f32 v[2:3], v[2:3], v[0:1]
	v_cvt_f16_f32_e32 v3, v3
	v_cvt_f16_f32_e32 v2, v2
	v_pack_b32_f16 v5, v2, v3
	buffer_load_dword v2, off, s[28:31], 0 offset:184 ; 4-byte Folded Reload
	buffer_load_dword v3, off, s[28:31], 0 offset:188 ; 4-byte Folded Reload
	;; [unrolled: 1-line block ×3, first 2 shown]
	s_waitcnt vmcnt(1)
	v_pk_mul_f32 v[2:3], v[2:3], v[0:1]
	v_cvt_f16_f32_e32 v6, v3
	v_cvt_f16_f32_e32 v7, v2
	v_pk_mul_f32 v[2:3], v[66:67], v[0:1]
	v_cvt_f16_f32_e32 v3, v3
	v_cvt_f16_f32_e32 v2, v2
	s_waitcnt vmcnt(0)
	v_pk_add_f16 v5, v8, v5
	v_pack_b32_f16 v6, v7, v6
	v_pk_add_f16 v5, v5, v6
	v_pack_b32_f16 v6, v2, v3
	buffer_load_dword v2, off, s[28:31], 0 offset:80 ; 4-byte Folded Reload
	buffer_load_dword v3, off, s[28:31], 0 offset:84 ; 4-byte Folded Reload
	v_pk_add_f16 v5, v5, v6
	s_waitcnt vmcnt(0)
	v_pk_mul_f32 v[2:3], v[2:3], v[0:1]
	v_cvt_f16_f32_e32 v7, v3
	v_cvt_f16_f32_e32 v8, v2
	buffer_load_dword v2, off, s[28:31], 0 offset:176 ; 4-byte Folded Reload
	buffer_load_dword v3, off, s[28:31], 0 offset:180 ; 4-byte Folded Reload
	v_pack_b32_f16 v6, v8, v7
	buffer_load_dword v7, off, s[28:31], 0 offset:32 ; 4-byte Folded Reload
	s_waitcnt vmcnt(1)
	v_pk_mul_f32 v[2:3], v[2:3], v[0:1]
	v_cvt_f16_f32_e32 v3, v3
	v_cvt_f16_f32_e32 v2, v2
	s_waitcnt vmcnt(0)
	v_pk_add_f16 v6, v7, v6
	v_pack_b32_f16 v7, v2, v3
	buffer_load_dword v2, off, s[28:31], 0 offset:224 ; 4-byte Folded Reload
	buffer_load_dword v3, off, s[28:31], 0 offset:228 ; 4-byte Folded Reload
	v_pk_add_f16 v6, v6, v7
	s_waitcnt vmcnt(0)
	v_pk_mul_f32 v[2:3], v[2:3], v[0:1]
	v_cvt_f16_f32_e32 v8, v3
	v_cvt_f16_f32_e32 v9, v2
	buffer_load_dword v2, off, s[28:31], 0 offset:72 ; 4-byte Folded Reload
	buffer_load_dword v3, off, s[28:31], 0 offset:76 ; 4-byte Folded Reload
	v_pack_b32_f16 v7, v9, v8
	v_pk_add_f16 v6, v6, v7
	s_waitcnt vmcnt(0)
	v_pk_mul_f32 v[2:3], v[2:3], v[0:1]
	v_cvt_f16_f32_e32 v3, v3
	v_cvt_f16_f32_e32 v2, v2
	v_pack_b32_f16 v7, v2, v3
	buffer_load_dword v2, off, s[28:31], 0 offset:168 ; 4-byte Folded Reload
	buffer_load_dword v3, off, s[28:31], 0 offset:172 ; 4-byte Folded Reload
	s_waitcnt vmcnt(0)
	v_pk_mul_f32 v[2:3], v[2:3], v[0:1]
	v_cvt_f16_f32_e32 v8, v3
	v_cvt_f16_f32_e32 v9, v2
	buffer_load_dword v2, off, s[28:31], 0 offset:216 ; 4-byte Folded Reload
	buffer_load_dword v3, off, s[28:31], 0 offset:220 ; 4-byte Folded Reload
	;; [unrolled: 1-line block ×3, first 2 shown]
	v_pack_b32_f16 v8, v9, v8
	s_waitcnt vmcnt(1)
	v_pk_mul_f32 v[2:3], v[2:3], v[0:1]
	v_cvt_f16_f32_e32 v3, v3
	v_cvt_f16_f32_e32 v2, v2
	s_waitcnt vmcnt(0)
	v_pk_add_f16 v7, v10, v7
	v_pk_add_f16 v7, v7, v8
	v_pack_b32_f16 v8, v2, v3
	buffer_load_dword v2, off, s[28:31], 0 offset:64 ; 4-byte Folded Reload
	buffer_load_dword v3, off, s[28:31], 0 offset:68 ; 4-byte Folded Reload
	v_pk_add_f16 v7, v7, v8
	s_waitcnt vmcnt(0)
	v_pk_mul_f32 v[2:3], v[2:3], v[0:1]
	v_cvt_f16_f32_e32 v9, v3
	v_cvt_f16_f32_e32 v10, v2
	buffer_load_dword v2, off, s[28:31], 0 offset:160 ; 4-byte Folded Reload
	buffer_load_dword v3, off, s[28:31], 0 offset:164 ; 4-byte Folded Reload
	v_pack_b32_f16 v8, v10, v9
	buffer_load_dword v9, off, s[28:31], 0 offset:16 ; 4-byte Folded Reload
	s_waitcnt vmcnt(1)
	v_pk_mul_f32 v[2:3], v[2:3], v[0:1]
	v_cvt_f16_f32_e32 v3, v3
	v_cvt_f16_f32_e32 v2, v2
	s_waitcnt vmcnt(0)
	v_pk_add_f16 v8, v9, v8
	v_pack_b32_f16 v9, v2, v3
	buffer_load_dword v2, off, s[28:31], 0 offset:208 ; 4-byte Folded Reload
	buffer_load_dword v3, off, s[28:31], 0 offset:212 ; 4-byte Folded Reload
	v_pk_add_f16 v8, v8, v9
	s_waitcnt vmcnt(0)
	v_pk_mul_f32 v[2:3], v[2:3], v[0:1]
	v_cvt_f16_f32_e32 v10, v3
	v_cvt_f16_f32_e32 v11, v2
	buffer_load_dword v2, off, s[28:31], 0 offset:56 ; 4-byte Folded Reload
	buffer_load_dword v3, off, s[28:31], 0 offset:60 ; 4-byte Folded Reload
	v_pack_b32_f16 v9, v11, v10
	v_pk_add_f16 v8, v8, v9
	s_waitcnt vmcnt(0)
	v_pk_mul_f32 v[2:3], v[2:3], v[0:1]
	v_cvt_f16_f32_e32 v3, v3
	v_cvt_f16_f32_e32 v2, v2
	v_pack_b32_f16 v9, v2, v3
	buffer_load_dword v2, off, s[28:31], 0 offset:152 ; 4-byte Folded Reload
	buffer_load_dword v3, off, s[28:31], 0 offset:156 ; 4-byte Folded Reload
	s_waitcnt vmcnt(0)
	v_pk_mul_f32 v[2:3], v[2:3], v[0:1]
	v_cvt_f16_f32_e32 v10, v3
	v_cvt_f16_f32_e32 v11, v2
	buffer_load_dword v2, off, s[28:31], 0 offset:200 ; 4-byte Folded Reload
	buffer_load_dword v3, off, s[28:31], 0 offset:204 ; 4-byte Folded Reload
	buffer_load_dword v31, off, s[28:31], 0 ; 4-byte Folded Reload
	v_pack_b32_f16 v10, v11, v10
	s_waitcnt vmcnt(1)
	v_pk_mul_f32 v[2:3], v[2:3], v[0:1]
	v_cvt_f16_f32_e32 v3, v3
	v_cvt_f16_f32_e32 v2, v2
	s_waitcnt vmcnt(0)
	v_pk_add_f16 v9, v31, v9
	v_pk_add_f16 v9, v9, v10
	v_pack_b32_f16 v10, v2, v3
	v_pk_mul_f32 v[2:3], v[26:27], v[0:1]
	v_cvt_f16_f32_e32 v11, v3
	v_cvt_f16_f32_e32 v26, v2
	v_pk_mul_f32 v[2:3], v[28:29], v[0:1]
	v_cvt_f16_f32_e32 v3, v3
	v_cvt_f16_f32_e32 v2, v2
	v_pk_add_f16 v9, v9, v10
	v_pack_b32_f16 v10, v26, v11
	v_pk_add_f16 v26, v5, v10
	v_pack_b32_f16 v5, v2, v3
	v_pk_mul_f32 v[2:3], v[22:23], v[0:1]
	v_cvt_f16_f32_e32 v10, v3
	v_cvt_f16_f32_e32 v11, v2
	v_pk_mul_f32 v[2:3], v[24:25], v[0:1]
	v_cvt_f16_f32_e32 v3, v3
	v_cvt_f16_f32_e32 v2, v2
	v_pk_add_f16 v22, v6, v5
	v_pack_b32_f16 v5, v11, v10
	v_pk_add_f16 v11, v7, v5
	v_pack_b32_f16 v5, v2, v3
	v_pk_fma_f32 v[2:3], v[18:19], v[56:57], v[50:51] op_sel_hi:[1,0,1]
	v_pk_mul_f32 v[2:3], v[2:3], v[0:1]
	v_cvt_f16_f32_e32 v6, v3
	v_cvt_f16_f32_e32 v7, v2
	v_pk_fma_f32 v[2:3], v[12:13], v[58:59], v[126:127] op_sel_hi:[1,0,1]
	v_pk_fma_f32 v[2:3], v[14:15], v[62:63], v[2:3] op_sel_hi:[1,0,1]
	;; [unrolled: 1-line block ×4, first 2 shown]
	v_pk_mul_f32 v[0:1], v[2:3], v[0:1]
	v_cvt_f16_f32_e32 v1, v1
	v_cvt_f16_f32_e32 v0, v0
	v_pack_b32_f16 v2, v7, v6
	v_pk_add_f16 v10, v8, v5
	v_pk_add_f16 v6, v9, v2
	v_pack_b32_f16 v0, v0, v1
	v_pk_add_f16 v7, v4, v0
	v_add_co_u32_e32 v4, vcc, s0, v124
	v_addc_co_u32_e32 v5, vcc, v125, v89, vcc
	s_cbranch_scc1 .LBB38_21
.LBB38_19:                              ; =>This Inner Loop Header: Depth=1
	s_cmp_lg_u32 s24, s5
	buffer_store_dword v6, off, s[28:31], 0 ; 4-byte Folded Spill
	buffer_store_dword v32, off, s[28:31], 0 offset:4 ; 4-byte Folded Spill
	buffer_store_dword v7, off, s[28:31], 0 offset:8 ; 4-byte Folded Spill
	;; [unrolled: 1-line block ×11, first 2 shown]
	s_cbranch_scc0 .LBB38_17
; %bb.20:                               ;   in Loop: Header=BB38_19 Depth=1
	s_waitcnt vmcnt(31)
	buffer_store_dword v20, off, s[28:31], 0 offset:48 ; 4-byte Folded Spill
	s_nop 0
	buffer_store_dword v21, off, s[28:31], 0 offset:52 ; 4-byte Folded Spill
	buffer_load_dword v6, off, s[28:31], 0 offset:232 ; 4-byte Folded Reload
	buffer_load_dword v7, off, s[28:31], 0 offset:236 ; 4-byte Folded Reload
	;; [unrolled: 1-line block ×16, first 2 shown]
	s_waitcnt vmcnt(0)
	v_mov_b32_e32 v7, v11
	s_branch .LBB38_18
.LBB38_21:
	buffer_load_dword v0, off, s[28:31], 0 offset:300 ; 4-byte Folded Reload
	buffer_load_dword v1, off, s[28:31], 0 offset:304 ; 4-byte Folded Reload
	s_mul_i32 s7, s7, s20
	s_mov_b64 s[0:1], 0
	s_waitcnt vmcnt(1)
	v_add_u32_e32 v0, s7, v0
	s_waitcnt vmcnt(0)
	v_ashrrev_i32_e32 v1, 31, v0
	v_lshlrev_b64 v[2:3], 1, v[0:1]
	v_mov_b32_e32 v1, s19
	v_add_co_u32_e32 v2, vcc, s18, v2
	v_addc_co_u32_e32 v3, vcc, v1, v3, vcc
	global_load_dword v5, v[2:3], off
.LBB38_22:                              ; =>This Inner Loop Header: Depth=1
	s_waitcnt vmcnt(0)
	v_pk_add_f16 v4, v40, v5
	global_atomic_cmpswap v1, v[2:3], v[4:5], off glc
	s_waitcnt vmcnt(0)
	v_cmp_eq_u32_e32 vcc, v5, v1
	s_or_b64 s[0:1], vcc, s[0:1]
	v_mov_b32_e32 v5, v1
	s_andn2_b64 exec, exec, s[0:1]
	s_cbranch_execnz .LBB38_22
; %bb.23:
	s_or_b64 exec, exec, s[0:1]
	global_load_dword v5, v[2:3], off offset:4
	s_mov_b64 s[0:1], 0
.LBB38_24:                              ; =>This Inner Loop Header: Depth=1
	s_waitcnt vmcnt(0)
	v_pk_add_f16 v4, v26, v5
	global_atomic_cmpswap v1, v[2:3], v[4:5], off offset:4 glc
	s_waitcnt vmcnt(0)
	v_cmp_eq_u32_e32 vcc, v5, v1
	s_or_b64 s[0:1], vcc, s[0:1]
	v_mov_b32_e32 v5, v1
	s_andn2_b64 exec, exec, s[0:1]
	s_cbranch_execnz .LBB38_24
; %bb.25:
	s_or_b64 exec, exec, s[0:1]
	v_add_u32_e32 v0, s20, v0
	v_ashrrev_i32_e32 v1, 31, v0
	v_lshlrev_b64 v[2:3], 1, v[0:1]
	v_mov_b32_e32 v1, s19
	v_add_co_u32_e32 v2, vcc, s18, v2
	v_addc_co_u32_e32 v3, vcc, v1, v3, vcc
	global_load_dword v5, v[2:3], off
	s_mov_b64 s[0:1], 0
.LBB38_26:                              ; =>This Inner Loop Header: Depth=1
	s_waitcnt vmcnt(0)
	v_pk_add_f16 v4, v39, v5
	global_atomic_cmpswap v1, v[2:3], v[4:5], off glc
	s_waitcnt vmcnt(0)
	v_cmp_eq_u32_e32 vcc, v5, v1
	s_or_b64 s[0:1], vcc, s[0:1]
	v_mov_b32_e32 v5, v1
	s_andn2_b64 exec, exec, s[0:1]
	s_cbranch_execnz .LBB38_26
; %bb.27:
	s_or_b64 exec, exec, s[0:1]
	global_load_dword v5, v[2:3], off offset:4
	s_mov_b64 s[0:1], 0
.LBB38_28:                              ; =>This Inner Loop Header: Depth=1
	s_waitcnt vmcnt(0)
	v_pk_add_f16 v4, v22, v5
	global_atomic_cmpswap v1, v[2:3], v[4:5], off offset:4 glc
	s_waitcnt vmcnt(0)
	v_cmp_eq_u32_e32 vcc, v5, v1
	s_or_b64 s[0:1], vcc, s[0:1]
	v_mov_b32_e32 v5, v1
	s_andn2_b64 exec, exec, s[0:1]
	s_cbranch_execnz .LBB38_28
; %bb.29:
	s_or_b64 exec, exec, s[0:1]
	v_add_u32_e32 v0, s20, v0
	v_ashrrev_i32_e32 v1, 31, v0
	v_lshlrev_b64 v[2:3], 1, v[0:1]
	v_mov_b32_e32 v1, s19
	v_add_co_u32_e32 v2, vcc, s18, v2
	v_addc_co_u32_e32 v3, vcc, v1, v3, vcc
	global_load_dword v5, v[2:3], off
	s_mov_b64 s[0:1], 0
	;; [unrolled: 34-line block ×5, first 2 shown]
.LBB38_42:                              ; =>This Inner Loop Header: Depth=1
	s_waitcnt vmcnt(0)
	v_pk_add_f16 v2, v33, v3
	global_atomic_cmpswap v2, v[0:1], v[2:3], off glc
	s_waitcnt vmcnt(0)
	v_cmp_eq_u32_e32 vcc, v3, v2
	s_or_b64 s[0:1], vcc, s[0:1]
	v_mov_b32_e32 v3, v2
	s_andn2_b64 exec, exec, s[0:1]
	s_cbranch_execnz .LBB38_42
; %bb.43:
	s_or_b64 exec, exec, s[0:1]
	global_load_dword v3, v[0:1], off offset:4
	s_mov_b64 s[0:1], 0
.LBB38_44:                              ; =>This Inner Loop Header: Depth=1
	s_waitcnt vmcnt(0)
	v_pk_add_f16 v2, v7, v3
	global_atomic_cmpswap v2, v[0:1], v[2:3], off offset:4 glc
	s_waitcnt vmcnt(0)
	v_cmp_eq_u32_e32 vcc, v3, v2
	s_or_b64 s[0:1], vcc, s[0:1]
	v_mov_b32_e32 v3, v2
	s_andn2_b64 exec, exec, s[0:1]
	s_cbranch_execnz .LBB38_44
.LBB38_45:
	s_endpgm
	.section	.rodata,"a",@progbits
	.p2align	6, 0x0
	.amdhsa_kernel _ZN4vllm4gptq33gemm_half_q_half_gptq_8bit_kernelILb1ELi6EEEvPK6__halfPKjS6_S4_PS2_iiiibPKi
		.amdhsa_group_segment_fixed_size 1536
		.amdhsa_private_segment_fixed_size 316
		.amdhsa_kernarg_size 72
		.amdhsa_user_sgpr_count 6
		.amdhsa_user_sgpr_private_segment_buffer 1
		.amdhsa_user_sgpr_dispatch_ptr 0
		.amdhsa_user_sgpr_queue_ptr 0
		.amdhsa_user_sgpr_kernarg_segment_ptr 1
		.amdhsa_user_sgpr_dispatch_id 0
		.amdhsa_user_sgpr_flat_scratch_init 0
		.amdhsa_user_sgpr_kernarg_preload_length 0
		.amdhsa_user_sgpr_kernarg_preload_offset 0
		.amdhsa_user_sgpr_private_segment_size 0
		.amdhsa_uses_dynamic_stack 0
		.amdhsa_system_sgpr_private_segment_wavefront_offset 1
		.amdhsa_system_sgpr_workgroup_id_x 1
		.amdhsa_system_sgpr_workgroup_id_y 1
		.amdhsa_system_sgpr_workgroup_id_z 1
		.amdhsa_system_sgpr_workgroup_info 0
		.amdhsa_system_vgpr_workitem_id 0
		.amdhsa_next_free_vgpr 128
		.amdhsa_next_free_sgpr 32
		.amdhsa_accum_offset 128
		.amdhsa_reserve_vcc 1
		.amdhsa_reserve_flat_scratch 0
		.amdhsa_float_round_mode_32 0
		.amdhsa_float_round_mode_16_64 0
		.amdhsa_float_denorm_mode_32 3
		.amdhsa_float_denorm_mode_16_64 3
		.amdhsa_dx10_clamp 1
		.amdhsa_ieee_mode 1
		.amdhsa_fp16_overflow 0
		.amdhsa_tg_split 0
		.amdhsa_exception_fp_ieee_invalid_op 0
		.amdhsa_exception_fp_denorm_src 0
		.amdhsa_exception_fp_ieee_div_zero 0
		.amdhsa_exception_fp_ieee_overflow 0
		.amdhsa_exception_fp_ieee_underflow 0
		.amdhsa_exception_fp_ieee_inexact 0
		.amdhsa_exception_int_div_zero 0
	.end_amdhsa_kernel
	.section	.text._ZN4vllm4gptq33gemm_half_q_half_gptq_8bit_kernelILb1ELi6EEEvPK6__halfPKjS6_S4_PS2_iiiibPKi,"axG",@progbits,_ZN4vllm4gptq33gemm_half_q_half_gptq_8bit_kernelILb1ELi6EEEvPK6__halfPKjS6_S4_PS2_iiiibPKi,comdat
.Lfunc_end38:
	.size	_ZN4vllm4gptq33gemm_half_q_half_gptq_8bit_kernelILb1ELi6EEEvPK6__halfPKjS6_S4_PS2_iiiibPKi, .Lfunc_end38-_ZN4vllm4gptq33gemm_half_q_half_gptq_8bit_kernelILb1ELi6EEEvPK6__halfPKjS6_S4_PS2_iiiibPKi
                                        ; -- End function
	.section	.AMDGPU.csdata,"",@progbits
; Kernel info:
; codeLenInByte = 13316
; NumSgprs: 36
; NumVgprs: 128
; NumAgprs: 0
; TotalNumVgprs: 128
; ScratchSize: 316
; MemoryBound: 0
; FloatMode: 240
; IeeeMode: 1
; LDSByteSize: 1536 bytes/workgroup (compile time only)
; SGPRBlocks: 4
; VGPRBlocks: 15
; NumSGPRsForWavesPerEU: 36
; NumVGPRsForWavesPerEU: 128
; AccumOffset: 128
; Occupancy: 4
; WaveLimiterHint : 0
; COMPUTE_PGM_RSRC2:SCRATCH_EN: 1
; COMPUTE_PGM_RSRC2:USER_SGPR: 6
; COMPUTE_PGM_RSRC2:TRAP_HANDLER: 0
; COMPUTE_PGM_RSRC2:TGID_X_EN: 1
; COMPUTE_PGM_RSRC2:TGID_Y_EN: 1
; COMPUTE_PGM_RSRC2:TGID_Z_EN: 1
; COMPUTE_PGM_RSRC2:TIDIG_COMP_CNT: 0
; COMPUTE_PGM_RSRC3_GFX90A:ACCUM_OFFSET: 31
; COMPUTE_PGM_RSRC3_GFX90A:TG_SPLIT: 0
	.section	.text._ZN4vllm4gptq33gemm_half_q_half_gptq_2bit_kernelILb1ELi7EEEvPK6__halfPKjS6_S4_PS2_iiiibPKi,"axG",@progbits,_ZN4vllm4gptq33gemm_half_q_half_gptq_2bit_kernelILb1ELi7EEEvPK6__halfPKjS6_S4_PS2_iiiibPKi,comdat
	.protected	_ZN4vllm4gptq33gemm_half_q_half_gptq_2bit_kernelILb1ELi7EEEvPK6__halfPKjS6_S4_PS2_iiiibPKi ; -- Begin function _ZN4vllm4gptq33gemm_half_q_half_gptq_2bit_kernelILb1ELi7EEEvPK6__halfPKjS6_S4_PS2_iiiibPKi
	.globl	_ZN4vllm4gptq33gemm_half_q_half_gptq_2bit_kernelILb1ELi7EEEvPK6__halfPKjS6_S4_PS2_iiiibPKi
	.p2align	8
	.type	_ZN4vllm4gptq33gemm_half_q_half_gptq_2bit_kernelILb1ELi7EEEvPK6__halfPKjS6_S4_PS2_iiiibPKi,@function
_ZN4vllm4gptq33gemm_half_q_half_gptq_2bit_kernelILb1ELi7EEEvPK6__halfPKjS6_S4_PS2_iiiibPKi: ; @_ZN4vllm4gptq33gemm_half_q_half_gptq_2bit_kernelILb1ELi7EEEvPK6__halfPKjS6_S4_PS2_iiiibPKi
; %bb.0:
	s_load_dwordx8 s[12:19], s[4:5], 0x8
	s_load_dwordx4 s[20:23], s[4:5], 0x2c
	s_lshl_b32 s24, s8, 7
	s_add_i32 s0, s24, 0x80
	v_cvt_f64_u32_e32 v[2:3], s0
	s_mul_i32 s7, s7, 7
	s_waitcnt lgkmcnt(0)
	v_cvt_f64_i32_e32 v[4:5], s21
	v_min_f64 v[2:3], v[2:3], v[4:5]
	v_cvt_i32_f64_e32 v1, v[2:3]
	v_add_u32_e32 v2, s24, v0
	v_readfirstlane_b32 s25, v1
	v_cmp_lt_u32_e32 vcc, v2, v1
	s_and_saveexec_b64 s[2:3], vcc
	s_cbranch_execz .LBB39_16
; %bb.1:
	s_load_dwordx2 s[0:1], s[4:5], 0x40
	s_load_dwordx2 s[8:9], s[4:5], 0x0
	v_mov_b32_e32 v3, 0
	v_lshlrev_b64 v[4:5], 2, v[2:3]
	v_pk_mov_b32 v[6:7], v[2:3], v[2:3] op_sel:[0,1]
	s_waitcnt lgkmcnt(0)
	s_cmp_lg_u64 s[0:1], 0
	v_mov_b32_e32 v1, s1
	v_add_co_u32_e32 v4, vcc, s0, v4
	s_cselect_b64 s[4:5], -1, 0
	s_cmp_eq_u64 s[0:1], 0
	v_addc_co_u32_e32 v5, vcc, v1, v5, vcc
	s_cbranch_scc1 .LBB39_3
; %bb.2:
	global_load_dword v6, v[4:5], off
	s_waitcnt vmcnt(0)
	v_ashrrev_i32_e32 v7, 31, v6
.LBB39_3:
	s_mul_i32 s10, s7, s21
	s_ashr_i32 s11, s10, 31
	s_lshl_b64 s[0:1], s[10:11], 1
	s_add_u32 s0, s8, s0
	s_addc_u32 s1, s9, s1
	v_lshlrev_b64 v[6:7], 1, v[6:7]
	v_mov_b32_e32 v1, s1
	v_add_co_u32_e32 v6, vcc, s0, v6
	v_addc_co_u32_e32 v7, vcc, v1, v7, vcc
	global_load_ushort v6, v[6:7], off
	v_lshlrev_b32_e32 v1, 1, v0
	v_cndmask_b32_e64 v7, 0, 1, s[4:5]
	v_cmp_ne_u32_e64 s[0:1], 1, v7
	s_andn2_b64 vcc, exec, s[4:5]
	s_waitcnt vmcnt(0)
	ds_write_b16 v1, v6
	v_pk_mov_b32 v[6:7], v[2:3], v[2:3] op_sel:[0,1]
	s_cbranch_vccnz .LBB39_5
; %bb.4:
	global_load_dword v6, v[4:5], off
	s_waitcnt vmcnt(0)
	v_ashrrev_i32_e32 v7, 31, v6
.LBB39_5:
	s_add_i32 s4, s10, s21
	s_ashr_i32 s5, s4, 31
	s_lshl_b64 s[10:11], s[4:5], 1
	s_add_u32 s5, s8, s10
	s_addc_u32 s10, s9, s11
	v_lshlrev_b64 v[6:7], 1, v[6:7]
	v_mov_b32_e32 v8, s10
	v_add_co_u32_e32 v6, vcc, s5, v6
	v_addc_co_u32_e32 v7, vcc, v8, v7, vcc
	global_load_ushort v6, v[6:7], off
	s_and_b64 vcc, exec, s[0:1]
	s_waitcnt vmcnt(0)
	ds_write_b16 v1, v6 offset:256
	v_pk_mov_b32 v[6:7], v[2:3], v[2:3] op_sel:[0,1]
	s_cbranch_vccnz .LBB39_7
; %bb.6:
	global_load_dword v6, v[4:5], off
	s_waitcnt vmcnt(0)
	v_ashrrev_i32_e32 v7, 31, v6
.LBB39_7:
	s_add_i32 s4, s4, s21
	s_ashr_i32 s5, s4, 31
	s_lshl_b64 s[10:11], s[4:5], 1
	s_add_u32 s5, s8, s10
	s_addc_u32 s10, s9, s11
	v_lshlrev_b64 v[6:7], 1, v[6:7]
	v_mov_b32_e32 v8, s10
	v_add_co_u32_e32 v6, vcc, s5, v6
	v_addc_co_u32_e32 v7, vcc, v8, v7, vcc
	global_load_ushort v6, v[6:7], off
	s_and_b64 vcc, exec, s[0:1]
	s_waitcnt vmcnt(0)
	ds_write_b16 v1, v6 offset:512
	;; [unrolled: 20-line block ×5, first 2 shown]
	s_cbranch_vccnz .LBB39_15
; %bb.14:
	global_load_dword v2, v[4:5], off
	s_waitcnt vmcnt(0)
	v_ashrrev_i32_e32 v3, 31, v2
.LBB39_15:
	s_add_i32 s0, s4, s21
	s_ashr_i32 s1, s0, 31
	s_lshl_b64 s[0:1], s[0:1], 1
	s_add_u32 s0, s8, s0
	s_addc_u32 s1, s9, s1
	v_lshlrev_b64 v[2:3], 1, v[2:3]
	v_mov_b32_e32 v4, s1
	v_add_co_u32_e32 v2, vcc, s0, v2
	v_addc_co_u32_e32 v3, vcc, v4, v3, vcc
	global_load_ushort v2, v[2:3], off
	s_waitcnt vmcnt(0)
	ds_write_b16 v1, v2 offset:1536
.LBB39_16:
	s_or_b64 exec, exec, s[2:3]
	v_lshlrev_b32_e32 v1, 2, v0
	v_lshl_add_u32 v4, s6, 9, v1
	v_cmp_gt_i32_e32 vcc, s20, v4
	s_and_saveexec_b64 s[0:1], vcc
	s_cbranch_execz .LBB39_50
; %bb.17:
	s_abs_i32 s0, s22
	v_cvt_f32_u32_e32 v1, s0
	s_mov_b32 s2, 0
	v_mov_b32_e32 v26, 0
	v_mov_b32_e32 v25, 0
	v_rcp_iflag_f32_e32 v1, v1
	v_mov_b32_e32 v23, 0
	v_mov_b32_e32 v22, 0
	s_cmp_ge_i32 s24, s25
	v_mul_f32_e32 v1, 0x4f7ffffe, v1
	v_cvt_u32_f32_e32 v1, v1
	v_mov_b32_e32 v21, 0
	v_mov_b32_e32 v20, 0
	;; [unrolled: 1-line block ×3, first 2 shown]
	v_readfirstlane_b32 s1, v1
	v_mov_b32_e32 v18, 0
	v_mov_b32_e32 v17, 0
	v_mov_b32_e32 v16, 0
	v_mov_b32_e32 v15, 0
	v_mov_b32_e32 v14, 0
	v_mov_b32_e32 v13, 0
	v_mov_b32_e32 v12, 0
	s_waitcnt lgkmcnt(0)
	s_barrier
	s_cbranch_scc1 .LBB39_22
; %bb.18:
	s_sub_i32 s6, 0, s0
	s_mul_i32 s6, s6, s1
	s_mul_hi_u32 s6, s1, s6
	s_abs_i32 s5, s21
	s_add_i32 s1, s1, s6
	s_ashr_i32 s3, s21, 31
	s_ashr_i32 s4, s22, 31
	s_mul_hi_u32 s1, s5, s1
	s_xor_b32 s3, s3, s4
	s_mul_i32 s4, s1, s0
	s_sub_i32 s4, s5, s4
	s_add_i32 s5, s1, 1
	s_sub_i32 s6, s4, s0
	s_cmp_ge_u32 s4, s0
	s_cselect_b32 s1, s5, s1
	s_cselect_b32 s4, s6, s4
	s_add_i32 s5, s1, 1
	s_cmp_ge_u32 s4, s0
	s_cselect_b32 s0, s5, s1
	s_xor_b32 s0, s0, s3
	s_sub_i32 s3, s0, s3
	v_cvt_f32_u32_e32 v1, s3
	s_bitcmp1_b32 s23, 0
	s_cselect_b64 s[0:1], -1, 0
	s_sub_i32 s4, 0, s3
	v_rcp_iflag_f32_e32 v1, v1
	s_xor_b64 s[0:1], s[0:1], -1
	v_ashrrev_i32_e32 v5, 31, v4
	v_lshrrev_b32_e32 v2, 28, v5
	v_mul_f32_e32 v1, 0x4f7ffffe, v1
	v_cvt_u32_f32_e32 v1, v1
	v_add_u32_e32 v2, v4, v2
	v_ashrrev_i32_e32 v24, 4, v2
	v_mov_b32_e32 v12, 0
	v_readfirstlane_b32 s5, v1
	s_mul_i32 s4, s4, s5
	s_mul_hi_u32 s4, s5, s4
	s_add_i32 s5, s5, s4
	s_mul_hi_u32 s4, s24, s5
	s_mul_i32 s5, s4, s3
	s_sub_i32 s5, s24, s5
	s_add_i32 s6, s4, 1
	s_sub_i32 s8, s5, s3
	s_cmp_ge_u32 s5, s3
	s_cselect_b32 s4, s6, s4
	s_cselect_b32 s5, s8, s5
	s_add_i32 s6, s4, 1
	s_cmp_ge_u32 s5, s3
	s_cselect_b32 s4, s6, s4
	s_mul_i32 s5, s4, s20
	s_ashr_i32 s6, s5, 31
	s_lshr_b32 s6, s6, 28
	v_add_u32_e32 v2, s5, v4
	s_add_i32 s5, s5, s6
	s_ashr_i32 s5, s5, 4
	v_add_u32_e32 v6, s5, v24
	v_ashrrev_i32_e32 v7, 31, v6
	v_lshlrev_b64 v[6:7], 2, v[6:7]
	v_ashrrev_i32_e32 v3, 31, v2
	v_mov_b32_e32 v1, s15
	v_add_co_u32_e32 v6, vcc, s14, v6
	v_lshlrev_b64 v[2:3], 1, v[2:3]
	v_addc_co_u32_e32 v7, vcc, v1, v7, vcc
	global_load_dword v10, v[6:7], off
	v_mov_b32_e32 v1, s17
	v_add_co_u32_e32 v2, vcc, s16, v2
	v_addc_co_u32_e32 v3, vcc, v1, v3, vcc
	global_load_dwordx2 v[6:7], v[2:3], off
	v_lshlrev_b32_e32 v2, 3, v0
	v_lshlrev_b64 v[0:1], 2, v[4:5]
	v_cndmask_b32_e64 v5, 0, 1, s[0:1]
	s_lshr_b32 s0, s24, 4
	s_mul_i32 s0, s0, s20
	s_ashr_i32 s1, s0, 31
	s_add_i32 s10, s3, s24
	s_ashr_i32 s21, s20, 31
	s_lshl_b64 s[0:1], s[0:1], 2
	s_add_u32 s11, s12, s0
	s_addc_u32 s12, s13, s1
	v_mov_b32_e32 v3, s12
	v_add_co_u32_e32 v0, vcc, s11, v0
	v_addc_co_u32_e32 v1, vcc, v3, v1, vcc
	v_and_b32_e32 v27, 24, v2
	v_add_co_u32_e32 v8, vcc, 8, v0
	s_movk_i32 s5, 0x3400
	s_movk_i32 s6, 0x2c00
	;; [unrolled: 1-line block ×3, first 2 shown]
	s_mov_b32 s9, 0x7060302
	v_mov_b32_e32 v13, 0
	v_mov_b32_e32 v14, 0
	;; [unrolled: 1-line block ×12, first 2 shown]
	s_lshl_b64 s[0:1], s[20:21], 2
	v_addc_co_u32_e32 v9, vcc, 0, v1, vcc
	v_mov_b32_e32 v26, 0
	s_waitcnt vmcnt(1)
	v_lshrrev_b32_e32 v0, v2, v10
	v_bfe_u32 v28, v10, v27, 2
	v_bfe_u32 v29, v0, 2, 2
	;; [unrolled: 1-line block ×4, first 2 shown]
	s_branch .LBB39_20
.LBB39_19:                              ;   in Loop: Header=BB39_20 Depth=1
	global_load_dwordx4 v[0:3], v[8:9], off offset:-8
	v_add_u32_e32 v10, v28, v5
	v_add_u32_e32 v11, v29, v5
	;; [unrolled: 1-line block ×4, first 2 shown]
	v_or_b32_e32 v36, 0xffffe400, v10
	v_cvt_f32_i32_e32 v10, v10
	v_or_b32_e32 v37, 0xffffe400, v11
	v_cvt_f32_i32_e32 v34, v11
	;; [unrolled: 2-line block ×4, first 2 shown]
	v_cvt_f16_f32_e32 v10, v10
	v_cvt_f16_f32_e32 v34, v34
	;; [unrolled: 1-line block ×4, first 2 shown]
	v_sub_f16_e32 v38, 0xdc00, v10
	v_sub_f16_e32 v39, 0xd400, v10
	;; [unrolled: 1-line block ×12, first 2 shown]
	s_add_i32 s11, s2, 0x400
	s_add_i32 s24, s24, 16
	v_add_co_u32_e32 v8, vcc, s0, v8
	s_waitcnt vmcnt(0)
	v_and_b32_e32 v32, 0x30003, v0
	v_and_b32_e32 v33, 0xc000c, v0
	;; [unrolled: 1-line block ×4, first 2 shown]
	v_lshrrev_b32_e32 v0, 8, v0
	v_and_b32_e32 v40, 0x30003, v1
	v_and_b32_e32 v41, 0xc000c, v1
	;; [unrolled: 1-line block ×4, first 2 shown]
	v_lshrrev_b32_e32 v1, 8, v1
	v_and_b32_e32 v44, 0x30003, v2
	v_and_b32_e32 v47, 0x30003, v0
	;; [unrolled: 1-line block ×9, first 2 shown]
	v_or_b32_e32 v34, 0x64006400, v34
	v_or_b32_e32 v67, 0x64006400, v44
	;; [unrolled: 1-line block ×6, first 2 shown]
	v_and_b32_e32 v51, 0x300030, v2
	v_or_b32_e32 v32, 0x64006400, v32
	v_or_b32_e32 v33, 0x64006400, v33
	;; [unrolled: 1-line block ×6, first 2 shown]
	v_pk_fma_f16 v42, v34, s6, v39 op_sel_hi:[1,0,0]
	v_or_b32_e32 v57, 0x64006400, v64
	v_or_b32_e32 v64, 0x64006400, v65
	v_pk_add_f16 v46, v36, v44 op_sel_hi:[0,1]
	v_pk_fma_f16 v44, v56, s6, v39 op_sel_hi:[1,0,0]
	v_pk_fma_f16 v39, v1, s8, v50 op_sel_hi:[1,0,0]
	v_and_b32_e32 v1, 0xc000c0, v2
	v_lshrrev_b32_e32 v2, 8, v2
	v_pk_add_f16 v40, v36, v32 op_sel_hi:[0,1]
	v_pk_fma_f16 v41, v33, s5, v38 op_sel_hi:[1,0,0]
	v_pk_add_f16 v32, v37, v58 op_sel_hi:[0,1]
	v_pk_fma_f16 v33, v59, s5, v48 op_sel_hi:[1,0,0]
	;; [unrolled: 2-line block ×3, first 2 shown]
	v_and_b32_e32 v48, 0x30003, v2
	v_and_b32_e32 v0, 0xc000c0, v0
	v_or_b32_e32 v56, 0x64006400, v48
	v_and_b32_e32 v48, 0xc000c, v2
	v_or_b32_e32 v35, 0x64006400, v35
	v_or_b32_e32 v0, 0x64006400, v0
	;; [unrolled: 1-line block ×3, first 2 shown]
	v_and_b32_e32 v48, 0x300030, v2
	v_and_b32_e32 v2, 0xc000c0, v2
	v_or_b32_e32 v63, 0x64006400, v43
	v_pk_fma_f16 v43, v35, s8, v45 op_sel_hi:[1,0,0]
	v_pk_fma_f16 v45, v0, s8, v45 op_sel_hi:[1,0,0]
	v_or_b32_e32 v0, 0x64006400, v51
	v_or_b32_e32 v1, 0x64006400, v1
	;; [unrolled: 1-line block ×3, first 2 shown]
	v_pk_fma_f16 v35, v63, s8, v50 op_sel_hi:[1,0,0]
	v_or_b32_e32 v58, 0x64006400, v48
	v_pk_add_f16 v48, v52, v67 op_sel_hi:[0,1]
	v_pk_fma_f16 v50, v0, s6, v54 op_sel_hi:[1,0,0]
	v_pk_fma_f16 v51, v1, s8, v55 op_sel_hi:[1,0,0]
	v_pk_add_f16 v52, v52, v56 op_sel_hi:[0,1]
	v_pk_fma_f16 v55, v2, s8, v55 op_sel_hi:[1,0,0]
	v_and_b32_e32 v0, 0x30003, v3
	v_and_b32_e32 v1, 0xc000c, v3
	;; [unrolled: 1-line block ×4, first 2 shown]
	v_lshrrev_b32_e32 v3, 8, v3
	v_or_b32_e32 v59, 0x64006400, v56
	v_and_b32_e32 v56, 0x30003, v3
	v_pk_fma_f16 v34, v60, s6, v49 op_sel_hi:[1,0,0]
	v_or_b32_e32 v60, 0x64006400, v56
	v_and_b32_e32 v56, 0xc000c, v3
	v_or_b32_e32 v63, 0x64006400, v56
	v_and_b32_e32 v56, 0x300030, v3
	v_or_b32_e32 v2, 0x64006400, v2
	v_or_b32_e32 v64, 0x64006400, v56
	v_pk_fma_f16 v54, v58, s6, v54 op_sel_hi:[1,0,0]
	v_pk_fma_f16 v58, v2, s6, v62 op_sel_hi:[1,0,0]
	v_pk_fma_f16 v62, v64, s6, v62 op_sel_hi:[1,0,0]
	v_mov_b32_e32 v64, s2
	v_or_b32_e32 v65, 0x64006400, v66
	ds_read2_b32 v[66:67], v64 offset1:1
	v_and_b32_e32 v3, 0xc000c0, v3
	v_or_b32_e32 v0, 0x64006400, v0
	v_or_b32_e32 v1, 0x64006400, v1
	;; [unrolled: 1-line block ×3, first 2 shown]
	v_pk_fma_f16 v47, v47, s5, v38 op_sel_hi:[1,0,0]
	v_pk_fma_f16 v38, v65, s6, v49 op_sel_hi:[1,0,0]
	;; [unrolled: 1-line block ×4, first 2 shown]
	v_pk_add_f16 v56, v11, v0 op_sel_hi:[0,1]
	v_pk_fma_f16 v57, v1, s5, v61 op_sel_hi:[1,0,0]
	v_pk_fma_f16 v59, v59, s8, v10 op_sel_hi:[1,0,0]
	v_pk_add_f16 v60, v11, v60 op_sel_hi:[0,1]
	v_pk_fma_f16 v61, v63, s5, v61 op_sel_hi:[1,0,0]
	v_pk_fma_f16 v63, v3, s8, v10 op_sel_hi:[1,0,0]
	ds_read2_b32 v[10:11], v64 offset0:2 offset1:3
	ds_read2_b32 v[2:3], v64 offset0:4 offset1:5
	ds_read2_b32 v[0:1], v64 offset0:6 offset1:7
	s_waitcnt lgkmcnt(3)
	v_pk_fma_f16 v65, v40, v66, 0
	v_pk_fma_f16 v68, v32, v66, 0
	v_pk_fma_f16 v65, v41, v67, v65
	v_pk_fma_f16 v68, v33, v67, v68
	s_waitcnt lgkmcnt(2)
	v_pk_fma_f16 v65, v42, v10, v65
	v_pk_fma_f16 v68, v34, v10, v68
	v_pk_fma_f16 v65, v43, v11, v65
	v_pk_fma_f16 v68, v35, v11, v68
	s_waitcnt lgkmcnt(1)
	v_pk_fma_f16 v65, v46, v2, v65
	v_pk_fma_f16 v68, v36, v2, v68
	v_pk_fma_f16 v65, v47, v3, v65
	v_pk_fma_f16 v68, v37, v3, v68
	s_waitcnt lgkmcnt(0)
	v_pk_fma_f16 v65, v44, v0, v65
	v_pk_fma_f16 v68, v38, v0, v68
	v_pk_fma_f16 v65, v45, v1, v65
	v_pk_fma_f16 v68, v39, v1, v68
	v_pack_b32_f16 v69, v65, v68
	v_perm_b32 v65, v68, v65, s9
	v_pk_add_f16 v65, v69, v65
	v_pk_fma_f16 v26, v65, v6, v26
	v_pk_fma_f16 v65, v48, v66, 0
	v_pk_fma_f16 v66, v56, v66, 0
	v_pk_fma_f16 v65, v49, v67, v65
	v_pk_fma_f16 v66, v57, v67, v66
	v_pk_fma_f16 v65, v50, v10, v65
	v_pk_fma_f16 v10, v58, v10, v66
	v_pk_fma_f16 v65, v51, v11, v65
	v_pk_fma_f16 v10, v59, v11, v10
	v_pk_fma_f16 v65, v52, v2, v65
	v_pk_fma_f16 v2, v60, v2, v10
	v_pk_fma_f16 v65, v53, v3, v65
	v_pk_fma_f16 v2, v61, v3, v2
	v_pk_fma_f16 v65, v54, v0, v65
	v_pk_fma_f16 v0, v62, v0, v2
	v_pk_fma_f16 v65, v55, v1, v65
	v_pk_fma_f16 v0, v63, v1, v0
	v_pack_b32_f16 v1, v65, v0
	v_perm_b32 v0, v0, v65, s9
	v_pk_add_f16 v2, v1, v0
	ds_read2_b32 v[0:1], v64 offset0:64 offset1:65
	v_pk_fma_f16 v25, v2, v7, v25
	ds_read2_b32 v[2:3], v64 offset0:66 offset1:67
	ds_read2_b32 v[10:11], v64 offset0:68 offset1:69
	ds_read2_b32 v[66:67], v64 offset0:70 offset1:71
	s_waitcnt lgkmcnt(3)
	v_pk_fma_f16 v65, v40, v0, 0
	v_pk_fma_f16 v68, v32, v0, 0
	v_pk_fma_f16 v65, v41, v1, v65
	v_pk_fma_f16 v68, v33, v1, v68
	s_waitcnt lgkmcnt(2)
	v_pk_fma_f16 v65, v42, v2, v65
	v_pk_fma_f16 v68, v34, v2, v68
	v_pk_fma_f16 v65, v43, v3, v65
	v_pk_fma_f16 v68, v35, v3, v68
	s_waitcnt lgkmcnt(1)
	v_pk_fma_f16 v65, v46, v10, v65
	v_pk_fma_f16 v68, v36, v10, v68
	v_pk_fma_f16 v65, v47, v11, v65
	v_pk_fma_f16 v68, v37, v11, v68
	s_waitcnt lgkmcnt(0)
	v_pk_fma_f16 v65, v44, v66, v65
	v_pk_fma_f16 v68, v38, v66, v68
	v_pk_fma_f16 v65, v45, v67, v65
	v_pk_fma_f16 v68, v39, v67, v68
	v_pack_b32_f16 v69, v65, v68
	v_perm_b32 v65, v68, v65, s9
	v_pk_add_f16 v65, v69, v65
	v_pk_fma_f16 v23, v65, v6, v23
	v_pk_fma_f16 v65, v48, v0, 0
	v_pk_fma_f16 v0, v56, v0, 0
	v_pk_fma_f16 v65, v49, v1, v65
	v_pk_fma_f16 v0, v57, v1, v0
	v_pk_fma_f16 v65, v50, v2, v65
	v_pk_fma_f16 v0, v58, v2, v0
	v_pk_fma_f16 v65, v51, v3, v65
	v_pk_fma_f16 v0, v59, v3, v0
	v_pk_fma_f16 v65, v52, v10, v65
	v_pk_fma_f16 v0, v60, v10, v0
	v_pk_fma_f16 v65, v53, v11, v65
	v_pk_fma_f16 v0, v61, v11, v0
	v_pk_fma_f16 v65, v54, v66, v65
	v_pk_fma_f16 v0, v62, v66, v0
	v_pk_fma_f16 v65, v55, v67, v65
	v_pk_fma_f16 v0, v63, v67, v0
	v_pack_b32_f16 v1, v65, v0
	v_perm_b32 v0, v0, v65, s9
	v_pk_add_f16 v2, v1, v0
	ds_read2_b32 v[0:1], v64 offset0:128 offset1:129
	v_pk_fma_f16 v22, v2, v7, v22
	;; [unrolled: 48-line block ×3, first 2 shown]
	ds_read2_b32 v[2:3], v64 offset0:194 offset1:195
	ds_read2_b32 v[10:11], v64 offset0:196 offset1:197
	;; [unrolled: 1-line block ×3, first 2 shown]
	s_waitcnt lgkmcnt(3)
	v_pk_fma_f16 v66, v40, v0, 0
	v_pk_fma_f16 v67, v32, v0, 0
	v_pk_fma_f16 v66, v41, v1, v66
	v_pk_fma_f16 v67, v33, v1, v67
	s_waitcnt lgkmcnt(2)
	v_pk_fma_f16 v66, v42, v2, v66
	v_pk_fma_f16 v67, v34, v2, v67
	v_pk_fma_f16 v66, v43, v3, v66
	v_pk_fma_f16 v67, v35, v3, v67
	;; [unrolled: 5-line block ×4, first 2 shown]
	v_pack_b32_f16 v68, v66, v67
	v_perm_b32 v66, v67, v66, s9
	v_pk_add_f16 v66, v68, v66
	v_pk_fma_f16 v19, v66, v6, v19
	v_pk_fma_f16 v66, v48, v0, 0
	;; [unrolled: 1-line block ×17, first 2 shown]
	v_pack_b32_f16 v1, v66, v0
	v_perm_b32 v0, v0, v66, s9
	v_pk_add_f16 v0, v1, v0
	v_pk_fma_f16 v18, v0, v7, v18
	v_mov_b32_e32 v0, s11
	s_add_i32 s11, s2, 0x408
	ds_read2_b32 v[10:11], v0 offset1:1
	v_mov_b32_e32 v1, s11
	s_add_i32 s11, s2, 0x410
	v_mov_b32_e32 v2, s11
	s_add_i32 s11, s2, 0x418
	v_mov_b32_e32 v0, s11
	ds_read2_b32 v[64:65], v1 offset1:1
	ds_read2_b32 v[2:3], v2 offset1:1
	;; [unrolled: 1-line block ×3, first 2 shown]
	s_waitcnt lgkmcnt(3)
	v_pk_fma_f16 v66, v40, v10, 0
	v_pk_fma_f16 v67, v32, v10, 0
	v_pk_fma_f16 v66, v41, v11, v66
	v_pk_fma_f16 v67, v33, v11, v67
	s_waitcnt lgkmcnt(2)
	v_pk_fma_f16 v66, v42, v64, v66
	v_pk_fma_f16 v67, v34, v64, v67
	v_pk_fma_f16 v66, v43, v65, v66
	v_pk_fma_f16 v67, v35, v65, v67
	;; [unrolled: 5-line block ×4, first 2 shown]
	v_pack_b32_f16 v68, v66, v67
	v_perm_b32 v66, v67, v66, s9
	v_pk_add_f16 v66, v68, v66
	v_pk_fma_f16 v17, v66, v6, v17
	v_pk_fma_f16 v66, v48, v10, 0
	;; [unrolled: 1-line block ×17, first 2 shown]
	v_pack_b32_f16 v1, v66, v0
	v_perm_b32 v0, v0, v66, s9
	v_pk_add_f16 v0, v1, v0
	s_add_i32 s11, s2, 0x500
	v_pk_fma_f16 v16, v0, v7, v16
	v_mov_b32_e32 v0, s11
	s_add_i32 s11, s2, 0x508
	ds_read2_b32 v[10:11], v0 offset1:1
	v_mov_b32_e32 v1, s11
	s_add_i32 s11, s2, 0x510
	v_mov_b32_e32 v2, s11
	s_add_i32 s11, s2, 0x518
	v_mov_b32_e32 v0, s11
	ds_read2_b32 v[64:65], v1 offset1:1
	ds_read2_b32 v[2:3], v2 offset1:1
	;; [unrolled: 1-line block ×3, first 2 shown]
	s_waitcnt lgkmcnt(3)
	v_pk_fma_f16 v66, v40, v10, 0
	v_pk_fma_f16 v67, v32, v10, 0
	v_pk_fma_f16 v66, v41, v11, v66
	v_pk_fma_f16 v67, v33, v11, v67
	s_waitcnt lgkmcnt(2)
	v_pk_fma_f16 v66, v42, v64, v66
	v_pk_fma_f16 v67, v34, v64, v67
	v_pk_fma_f16 v66, v43, v65, v66
	v_pk_fma_f16 v67, v35, v65, v67
	;; [unrolled: 5-line block ×4, first 2 shown]
	v_pack_b32_f16 v68, v66, v67
	v_perm_b32 v66, v67, v66, s9
	v_pk_add_f16 v66, v68, v66
	v_pk_fma_f16 v15, v66, v6, v15
	v_pk_fma_f16 v66, v48, v10, 0
	;; [unrolled: 1-line block ×17, first 2 shown]
	v_pack_b32_f16 v1, v66, v0
	v_perm_b32 v0, v0, v66, s9
	v_pk_add_f16 v0, v1, v0
	s_add_i32 s11, s2, 0x600
	v_pk_fma_f16 v14, v0, v7, v14
	v_mov_b32_e32 v0, s11
	s_add_i32 s11, s2, 0x608
	ds_read2_b32 v[0:1], v0 offset1:1
	v_mov_b32_e32 v2, s11
	s_add_i32 s11, s2, 0x610
	v_mov_b32_e32 v10, s11
	s_add_i32 s11, s2, 0x618
	v_mov_b32_e32 v64, s11
	ds_read2_b32 v[2:3], v2 offset1:1
	ds_read2_b32 v[10:11], v10 offset1:1
	;; [unrolled: 1-line block ×3, first 2 shown]
	s_waitcnt lgkmcnt(3)
	v_pk_fma_f16 v40, v40, v0, 0
	v_pk_fma_f16 v32, v32, v0, 0
	v_pk_fma_f16 v40, v41, v1, v40
	v_pk_fma_f16 v32, v33, v1, v32
	s_waitcnt lgkmcnt(2)
	v_pk_fma_f16 v40, v42, v2, v40
	v_pk_fma_f16 v32, v34, v2, v32
	v_pk_fma_f16 v40, v43, v3, v40
	v_pk_fma_f16 v32, v35, v3, v32
	;; [unrolled: 5-line block ×4, first 2 shown]
	v_pack_b32_f16 v33, v40, v32
	v_perm_b32 v32, v32, v40, s9
	v_pk_add_f16 v32, v33, v32
	v_pk_fma_f16 v13, v32, v6, v13
	v_pk_fma_f16 v32, v48, v0, 0
	;; [unrolled: 1-line block ×17, first 2 shown]
	v_pack_b32_f16 v1, v32, v0
	v_perm_b32 v0, v0, v32, s9
	v_pk_add_f16 v0, v1, v0
	v_pk_fma_f16 v12, v0, v7, v12
	v_mov_b32_e32 v0, s1
	s_add_i32 s2, s2, 32
	s_cmp_ge_i32 s24, s25
	v_addc_co_u32_e32 v9, vcc, v9, v0, vcc
	s_cbranch_scc1 .LBB39_22
.LBB39_20:                              ; =>This Inner Loop Header: Depth=1
	s_cmp_lg_u32 s24, s10
	s_cbranch_scc1 .LBB39_19
; %bb.21:                               ;   in Loop: Header=BB39_20 Depth=1
	s_add_i32 s4, s4, 1
	s_mul_i32 s11, s4, s20
	s_ashr_i32 s12, s11, 31
	s_lshr_b32 s12, s12, 28
	s_add_i32 s12, s11, s12
	s_ashr_i32 s12, s12, 4
	v_add_u32_e32 v0, s12, v24
	v_ashrrev_i32_e32 v1, 31, v0
	v_lshlrev_b64 v[0:1], 2, v[0:1]
	v_mov_b32_e32 v2, s15
	v_add_co_u32_e32 v0, vcc, s14, v0
	v_addc_co_u32_e32 v1, vcc, v2, v1, vcc
	global_load_dword v2, v[0:1], off
	v_add_u32_e32 v0, s11, v4
	v_ashrrev_i32_e32 v1, 31, v0
	v_lshlrev_b64 v[0:1], 1, v[0:1]
	v_mov_b32_e32 v3, s17
	v_add_co_u32_e32 v0, vcc, s16, v0
	v_addc_co_u32_e32 v1, vcc, v3, v1, vcc
	global_load_dwordx2 v[6:7], v[0:1], off
	s_add_i32 s10, s10, s3
	s_waitcnt vmcnt(1)
	v_lshrrev_b32_e32 v0, v27, v2
	v_bfe_u32 v28, v2, v27, 2
	v_bfe_u32 v29, v0, 2, 2
	;; [unrolled: 1-line block ×4, first 2 shown]
	s_branch .LBB39_19
.LBB39_22:
	s_mul_i32 s7, s7, s20
	v_add_u32_e32 v0, s7, v4
	v_ashrrev_i32_e32 v1, 31, v0
	v_lshlrev_b64 v[2:3], 1, v[0:1]
	v_mov_b32_e32 v1, s19
	v_add_co_u32_e32 v2, vcc, s18, v2
	v_addc_co_u32_e32 v3, vcc, v1, v3, vcc
	global_load_dword v5, v[2:3], off
	s_mov_b64 s[0:1], 0
.LBB39_23:                              ; =>This Inner Loop Header: Depth=1
	s_waitcnt vmcnt(0)
	v_pk_add_f16 v4, v26, v5
	global_atomic_cmpswap v1, v[2:3], v[4:5], off glc
	s_waitcnt vmcnt(0)
	v_cmp_eq_u32_e32 vcc, v5, v1
	s_or_b64 s[0:1], vcc, s[0:1]
	v_mov_b32_e32 v5, v1
	s_andn2_b64 exec, exec, s[0:1]
	s_cbranch_execnz .LBB39_23
; %bb.24:
	s_or_b64 exec, exec, s[0:1]
	global_load_dword v5, v[2:3], off offset:4
	s_mov_b64 s[0:1], 0
.LBB39_25:                              ; =>This Inner Loop Header: Depth=1
	s_waitcnt vmcnt(0)
	v_pk_add_f16 v4, v25, v5
	global_atomic_cmpswap v1, v[2:3], v[4:5], off offset:4 glc
	s_waitcnt vmcnt(0)
	v_cmp_eq_u32_e32 vcc, v5, v1
	s_or_b64 s[0:1], vcc, s[0:1]
	v_mov_b32_e32 v5, v1
	s_andn2_b64 exec, exec, s[0:1]
	s_cbranch_execnz .LBB39_25
; %bb.26:
	s_or_b64 exec, exec, s[0:1]
	v_add_u32_e32 v0, s20, v0
	v_ashrrev_i32_e32 v1, 31, v0
	v_lshlrev_b64 v[2:3], 1, v[0:1]
	v_mov_b32_e32 v1, s19
	v_add_co_u32_e32 v2, vcc, s18, v2
	v_addc_co_u32_e32 v3, vcc, v1, v3, vcc
	global_load_dword v5, v[2:3], off
	s_mov_b64 s[0:1], 0
.LBB39_27:                              ; =>This Inner Loop Header: Depth=1
	s_waitcnt vmcnt(0)
	v_pk_add_f16 v4, v23, v5
	global_atomic_cmpswap v1, v[2:3], v[4:5], off glc
	s_waitcnt vmcnt(0)
	v_cmp_eq_u32_e32 vcc, v5, v1
	s_or_b64 s[0:1], vcc, s[0:1]
	v_mov_b32_e32 v5, v1
	s_andn2_b64 exec, exec, s[0:1]
	s_cbranch_execnz .LBB39_27
; %bb.28:
	s_or_b64 exec, exec, s[0:1]
	global_load_dword v5, v[2:3], off offset:4
	s_mov_b64 s[0:1], 0
.LBB39_29:                              ; =>This Inner Loop Header: Depth=1
	s_waitcnt vmcnt(0)
	v_pk_add_f16 v4, v22, v5
	global_atomic_cmpswap v1, v[2:3], v[4:5], off offset:4 glc
	s_waitcnt vmcnt(0)
	v_cmp_eq_u32_e32 vcc, v5, v1
	s_or_b64 s[0:1], vcc, s[0:1]
	v_mov_b32_e32 v5, v1
	s_andn2_b64 exec, exec, s[0:1]
	s_cbranch_execnz .LBB39_29
; %bb.30:
	s_or_b64 exec, exec, s[0:1]
	;; [unrolled: 34-line block ×6, first 2 shown]
	v_add_u32_e32 v0, s20, v0
	v_ashrrev_i32_e32 v1, 31, v0
	v_lshlrev_b64 v[0:1], 1, v[0:1]
	v_mov_b32_e32 v2, s19
	v_add_co_u32_e32 v0, vcc, s18, v0
	v_addc_co_u32_e32 v1, vcc, v2, v1, vcc
	global_load_dword v3, v[0:1], off
	s_mov_b64 s[0:1], 0
.LBB39_47:                              ; =>This Inner Loop Header: Depth=1
	s_waitcnt vmcnt(0)
	v_pk_add_f16 v2, v13, v3
	global_atomic_cmpswap v2, v[0:1], v[2:3], off glc
	s_waitcnt vmcnt(0)
	v_cmp_eq_u32_e32 vcc, v3, v2
	s_or_b64 s[0:1], vcc, s[0:1]
	v_mov_b32_e32 v3, v2
	s_andn2_b64 exec, exec, s[0:1]
	s_cbranch_execnz .LBB39_47
; %bb.48:
	s_or_b64 exec, exec, s[0:1]
	global_load_dword v3, v[0:1], off offset:4
	s_mov_b64 s[0:1], 0
.LBB39_49:                              ; =>This Inner Loop Header: Depth=1
	s_waitcnt vmcnt(0)
	v_pk_add_f16 v2, v12, v3
	global_atomic_cmpswap v2, v[0:1], v[2:3], off offset:4 glc
	s_waitcnt vmcnt(0)
	v_cmp_eq_u32_e32 vcc, v3, v2
	s_or_b64 s[0:1], vcc, s[0:1]
	v_mov_b32_e32 v3, v2
	s_andn2_b64 exec, exec, s[0:1]
	s_cbranch_execnz .LBB39_49
.LBB39_50:
	s_endpgm
	.section	.rodata,"a",@progbits
	.p2align	6, 0x0
	.amdhsa_kernel _ZN4vllm4gptq33gemm_half_q_half_gptq_2bit_kernelILb1ELi7EEEvPK6__halfPKjS6_S4_PS2_iiiibPKi
		.amdhsa_group_segment_fixed_size 1792
		.amdhsa_private_segment_fixed_size 0
		.amdhsa_kernarg_size 72
		.amdhsa_user_sgpr_count 6
		.amdhsa_user_sgpr_private_segment_buffer 1
		.amdhsa_user_sgpr_dispatch_ptr 0
		.amdhsa_user_sgpr_queue_ptr 0
		.amdhsa_user_sgpr_kernarg_segment_ptr 1
		.amdhsa_user_sgpr_dispatch_id 0
		.amdhsa_user_sgpr_flat_scratch_init 0
		.amdhsa_user_sgpr_kernarg_preload_length 0
		.amdhsa_user_sgpr_kernarg_preload_offset 0
		.amdhsa_user_sgpr_private_segment_size 0
		.amdhsa_uses_dynamic_stack 0
		.amdhsa_system_sgpr_private_segment_wavefront_offset 0
		.amdhsa_system_sgpr_workgroup_id_x 1
		.amdhsa_system_sgpr_workgroup_id_y 1
		.amdhsa_system_sgpr_workgroup_id_z 1
		.amdhsa_system_sgpr_workgroup_info 0
		.amdhsa_system_vgpr_workitem_id 0
		.amdhsa_next_free_vgpr 70
		.amdhsa_next_free_sgpr 26
		.amdhsa_accum_offset 72
		.amdhsa_reserve_vcc 1
		.amdhsa_reserve_flat_scratch 0
		.amdhsa_float_round_mode_32 0
		.amdhsa_float_round_mode_16_64 0
		.amdhsa_float_denorm_mode_32 3
		.amdhsa_float_denorm_mode_16_64 3
		.amdhsa_dx10_clamp 1
		.amdhsa_ieee_mode 1
		.amdhsa_fp16_overflow 0
		.amdhsa_tg_split 0
		.amdhsa_exception_fp_ieee_invalid_op 0
		.amdhsa_exception_fp_denorm_src 0
		.amdhsa_exception_fp_ieee_div_zero 0
		.amdhsa_exception_fp_ieee_overflow 0
		.amdhsa_exception_fp_ieee_underflow 0
		.amdhsa_exception_fp_ieee_inexact 0
		.amdhsa_exception_int_div_zero 0
	.end_amdhsa_kernel
	.section	.text._ZN4vllm4gptq33gemm_half_q_half_gptq_2bit_kernelILb1ELi7EEEvPK6__halfPKjS6_S4_PS2_iiiibPKi,"axG",@progbits,_ZN4vllm4gptq33gemm_half_q_half_gptq_2bit_kernelILb1ELi7EEEvPK6__halfPKjS6_S4_PS2_iiiibPKi,comdat
.Lfunc_end39:
	.size	_ZN4vllm4gptq33gemm_half_q_half_gptq_2bit_kernelILb1ELi7EEEvPK6__halfPKjS6_S4_PS2_iiiibPKi, .Lfunc_end39-_ZN4vllm4gptq33gemm_half_q_half_gptq_2bit_kernelILb1ELi7EEEvPK6__halfPKjS6_S4_PS2_iiiibPKi
                                        ; -- End function
	.section	.AMDGPU.csdata,"",@progbits
; Kernel info:
; codeLenInByte = 6320
; NumSgprs: 30
; NumVgprs: 70
; NumAgprs: 0
; TotalNumVgprs: 70
; ScratchSize: 0
; MemoryBound: 0
; FloatMode: 240
; IeeeMode: 1
; LDSByteSize: 1792 bytes/workgroup (compile time only)
; SGPRBlocks: 3
; VGPRBlocks: 8
; NumSGPRsForWavesPerEU: 30
; NumVGPRsForWavesPerEU: 70
; AccumOffset: 72
; Occupancy: 7
; WaveLimiterHint : 0
; COMPUTE_PGM_RSRC2:SCRATCH_EN: 0
; COMPUTE_PGM_RSRC2:USER_SGPR: 6
; COMPUTE_PGM_RSRC2:TRAP_HANDLER: 0
; COMPUTE_PGM_RSRC2:TGID_X_EN: 1
; COMPUTE_PGM_RSRC2:TGID_Y_EN: 1
; COMPUTE_PGM_RSRC2:TGID_Z_EN: 1
; COMPUTE_PGM_RSRC2:TIDIG_COMP_CNT: 0
; COMPUTE_PGM_RSRC3_GFX90A:ACCUM_OFFSET: 17
; COMPUTE_PGM_RSRC3_GFX90A:TG_SPLIT: 0
	.section	.text._ZN4vllm4gptq33gemm_half_q_half_gptq_3bit_kernelILb1ELi7EEEvPK6__halfPKjS6_S4_PS2_iiiibPKi,"axG",@progbits,_ZN4vllm4gptq33gemm_half_q_half_gptq_3bit_kernelILb1ELi7EEEvPK6__halfPKjS6_S4_PS2_iiiibPKi,comdat
	.protected	_ZN4vllm4gptq33gemm_half_q_half_gptq_3bit_kernelILb1ELi7EEEvPK6__halfPKjS6_S4_PS2_iiiibPKi ; -- Begin function _ZN4vllm4gptq33gemm_half_q_half_gptq_3bit_kernelILb1ELi7EEEvPK6__halfPKjS6_S4_PS2_iiiibPKi
	.globl	_ZN4vllm4gptq33gemm_half_q_half_gptq_3bit_kernelILb1ELi7EEEvPK6__halfPKjS6_S4_PS2_iiiibPKi
	.p2align	8
	.type	_ZN4vllm4gptq33gemm_half_q_half_gptq_3bit_kernelILb1ELi7EEEvPK6__halfPKjS6_S4_PS2_iiiibPKi,@function
_ZN4vllm4gptq33gemm_half_q_half_gptq_3bit_kernelILb1ELi7EEEvPK6__halfPKjS6_S4_PS2_iiiibPKi: ; @_ZN4vllm4gptq33gemm_half_q_half_gptq_3bit_kernelILb1ELi7EEEvPK6__halfPKjS6_S4_PS2_iiiibPKi
; %bb.0:
	s_load_dwordx8 s[12:19], s[4:5], 0x8
	s_load_dwordx4 s[20:23], s[4:5], 0x2c
	s_lshl_b32 s25, s8, 7
	s_add_i32 s0, s25, 0x80
	v_cvt_f64_u32_e32 v[2:3], s0
	s_mul_i32 s24, s7, 7
	s_waitcnt lgkmcnt(0)
	v_cvt_f64_i32_e32 v[4:5], s21
	v_min_f64 v[2:3], v[2:3], v[4:5]
	v_cvt_i32_f64_e32 v1, v[2:3]
	v_add_u32_e32 v2, s25, v0
	v_readfirstlane_b32 s26, v1
	v_cmp_lt_u32_e32 vcc, v2, v1
	s_and_saveexec_b64 s[2:3], vcc
	s_cbranch_execz .LBB40_16
; %bb.1:
	s_load_dwordx2 s[0:1], s[4:5], 0x40
	s_load_dwordx2 s[8:9], s[4:5], 0x0
	v_mov_b32_e32 v3, 0
	v_lshlrev_b64 v[4:5], 2, v[2:3]
	v_pk_mov_b32 v[6:7], v[2:3], v[2:3] op_sel:[0,1]
	s_waitcnt lgkmcnt(0)
	s_cmp_lg_u64 s[0:1], 0
	v_mov_b32_e32 v1, s1
	v_add_co_u32_e32 v4, vcc, s0, v4
	s_cselect_b64 s[4:5], -1, 0
	s_cmp_eq_u64 s[0:1], 0
	v_addc_co_u32_e32 v5, vcc, v1, v5, vcc
	s_cbranch_scc1 .LBB40_3
; %bb.2:
	global_load_dword v6, v[4:5], off
	s_waitcnt vmcnt(0)
	v_ashrrev_i32_e32 v7, 31, v6
.LBB40_3:
	s_mul_i32 s10, s24, s21
	s_ashr_i32 s11, s10, 31
	s_lshl_b64 s[0:1], s[10:11], 1
	s_add_u32 s0, s8, s0
	s_addc_u32 s1, s9, s1
	v_lshlrev_b64 v[6:7], 1, v[6:7]
	v_mov_b32_e32 v1, s1
	v_add_co_u32_e32 v6, vcc, s0, v6
	v_addc_co_u32_e32 v7, vcc, v1, v7, vcc
	global_load_ushort v6, v[6:7], off
	v_lshlrev_b32_e32 v1, 1, v0
	v_cndmask_b32_e64 v7, 0, 1, s[4:5]
	v_cmp_ne_u32_e64 s[0:1], 1, v7
	s_andn2_b64 vcc, exec, s[4:5]
	s_waitcnt vmcnt(0)
	ds_write_b16 v1, v6
	v_pk_mov_b32 v[6:7], v[2:3], v[2:3] op_sel:[0,1]
	s_cbranch_vccnz .LBB40_5
; %bb.4:
	global_load_dword v6, v[4:5], off
	s_waitcnt vmcnt(0)
	v_ashrrev_i32_e32 v7, 31, v6
.LBB40_5:
	s_add_i32 s4, s10, s21
	s_ashr_i32 s5, s4, 31
	s_lshl_b64 s[10:11], s[4:5], 1
	s_add_u32 s5, s8, s10
	s_addc_u32 s7, s9, s11
	v_lshlrev_b64 v[6:7], 1, v[6:7]
	v_mov_b32_e32 v8, s7
	v_add_co_u32_e32 v6, vcc, s5, v6
	v_addc_co_u32_e32 v7, vcc, v8, v7, vcc
	global_load_ushort v6, v[6:7], off
	s_and_b64 vcc, exec, s[0:1]
	s_waitcnt vmcnt(0)
	ds_write_b16 v1, v6 offset:256
	v_pk_mov_b32 v[6:7], v[2:3], v[2:3] op_sel:[0,1]
	s_cbranch_vccnz .LBB40_7
; %bb.6:
	global_load_dword v6, v[4:5], off
	s_waitcnt vmcnt(0)
	v_ashrrev_i32_e32 v7, 31, v6
.LBB40_7:
	s_add_i32 s4, s4, s21
	s_ashr_i32 s5, s4, 31
	s_lshl_b64 s[10:11], s[4:5], 1
	s_add_u32 s5, s8, s10
	s_addc_u32 s7, s9, s11
	v_lshlrev_b64 v[6:7], 1, v[6:7]
	v_mov_b32_e32 v8, s7
	v_add_co_u32_e32 v6, vcc, s5, v6
	v_addc_co_u32_e32 v7, vcc, v8, v7, vcc
	global_load_ushort v6, v[6:7], off
	s_and_b64 vcc, exec, s[0:1]
	s_waitcnt vmcnt(0)
	ds_write_b16 v1, v6 offset:512
	;; [unrolled: 20-line block ×5, first 2 shown]
	s_cbranch_vccnz .LBB40_15
; %bb.14:
	global_load_dword v2, v[4:5], off
	s_waitcnt vmcnt(0)
	v_ashrrev_i32_e32 v3, 31, v2
.LBB40_15:
	s_add_i32 s0, s4, s21
	s_ashr_i32 s1, s0, 31
	s_lshl_b64 s[0:1], s[0:1], 1
	s_add_u32 s0, s8, s0
	s_addc_u32 s1, s9, s1
	v_lshlrev_b64 v[2:3], 1, v[2:3]
	v_mov_b32_e32 v4, s1
	v_add_co_u32_e32 v2, vcc, s0, v2
	v_addc_co_u32_e32 v3, vcc, v4, v3, vcc
	global_load_ushort v2, v[2:3], off
	s_waitcnt vmcnt(0)
	ds_write_b16 v1, v2 offset:1536
.LBB40_16:
	s_or_b64 exec, exec, s[2:3]
	v_lshlrev_b32_e32 v0, 2, v0
	v_lshl_add_u32 v12, s6, 9, v0
	v_cmp_gt_i32_e32 vcc, s20, v12
	s_and_saveexec_b64 s[0:1], vcc
	s_cbranch_execz .LBB40_82
; %bb.17:
	s_abs_i32 s0, s22
	v_cvt_f32_u32_e32 v1, s0
	s_sub_i32 s3, 0, s0
	s_abs_i32 s2, s21
	s_xor_b32 s1, s21, s22
	v_rcp_iflag_f32_e32 v1, v1
	s_ashr_i32 s1, s1, 31
	v_and_b32_e32 v2, 28, v0
	v_cmp_lt_u32_e32 vcc, 4, v2
	v_mul_f32_e32 v1, 0x4f7ffffe, v1
	v_cvt_u32_f32_e32 v1, v1
	s_waitcnt lgkmcnt(0)
	s_barrier
	v_readfirstlane_b32 s4, v1
	s_mul_i32 s3, s3, s4
	s_mul_hi_u32 s3, s4, s3
	s_add_i32 s4, s4, s3
	s_mul_hi_u32 s3, s2, s4
	s_mul_i32 s4, s3, s0
	s_sub_i32 s2, s2, s4
	s_add_i32 s5, s3, 1
	s_sub_i32 s4, s2, s0
	s_cmp_ge_u32 s2, s0
	s_cselect_b32 s3, s5, s3
	s_cselect_b32 s2, s4, s2
	s_add_i32 s4, s3, 1
	s_cmp_ge_u32 s2, s0
	s_cselect_b32 s0, s4, s3
	s_xor_b32 s0, s0, s1
	s_sub_i32 s27, s0, s1
	v_cvt_f32_u32_e32 v1, s27
	s_sub_i32 s0, 0, s27
                                        ; implicit-def: $vgpr3
                                        ; implicit-def: $vgpr4
	v_rcp_iflag_f32_e32 v1, v1
	v_mul_f32_e32 v1, 0x4f7ffffe, v1
	v_cvt_u32_f32_e32 v1, v1
	v_readfirstlane_b32 s1, v1
	s_mul_i32 s0, s0, s1
	s_mul_hi_u32 s0, s1, s0
	s_add_i32 s1, s1, s0
	s_mul_hi_u32 s0, s25, s1
	s_mul_i32 s1, s0, s27
	s_sub_i32 s1, s25, s1
	s_add_i32 s2, s0, 1
	s_sub_i32 s3, s1, s27
	s_cmp_ge_u32 s1, s27
	s_cselect_b32 s0, s2, s0
	s_cselect_b32 s1, s3, s1
	s_add_i32 s2, s0, 1
	s_cmp_ge_u32 s1, s27
	s_cselect_b32 s28, s2, s0
	s_and_saveexec_b64 s[0:1], vcc
	s_xor_b64 s[2:3], exec, s[0:1]
	s_cbranch_execz .LBB40_31
; %bb.18:
	v_cmp_ne_u32_e64 s[0:1], 8, v2
                                        ; implicit-def: $vgpr3
                                        ; implicit-def: $vgpr4
	s_and_saveexec_b64 s[4:5], s[0:1]
	s_xor_b64 s[4:5], exec, s[4:5]
	s_cbranch_execz .LBB40_28
; %bb.19:
	v_cmp_lt_u32_e64 s[0:1], 16, v2
                                        ; implicit-def: $vgpr3
                                        ; implicit-def: $vgpr4
	s_and_saveexec_b64 s[6:7], s[0:1]
	s_xor_b64 s[6:7], exec, s[6:7]
	s_cbranch_execz .LBB40_25
; %bb.20:
	s_mul_i32 s8, s28, s20
	v_lshl_add_u32 v0, v12, 1, v12
	s_ashr_i32 s0, s8, 31
	v_ashrrev_i32_e32 v1, 31, v0
	s_lshr_b32 s0, s0, 27
	v_lshrrev_b32_e32 v1, 27, v1
	s_add_i32 s0, s8, s0
	v_add_u32_e32 v0, v0, v1
	s_ashr_i32 s0, s0, 5
	v_ashrrev_i32_e32 v0, 5, v0
	v_mad_u64_u32 v[0:1], s[0:1], s0, 3, v[0:1]
	v_ashrrev_i32_e32 v1, 31, v0
	v_lshlrev_b64 v[0:1], 2, v[0:1]
	v_mov_b32_e32 v3, s15
	v_add_co_u32_e64 v0, s[0:1], s14, v0
	v_addc_co_u32_e64 v1, s[0:1], v3, v1, s[0:1]
	global_load_dword v5, v[0:1], off
	v_cmp_ne_u32_e64 s[0:1], 20, v2
                                        ; implicit-def: $vgpr3
	s_and_saveexec_b64 s[10:11], s[0:1]
	s_xor_b64 s[0:1], exec, s[10:11]
	s_cbranch_execz .LBB40_22
; %bb.21:
	v_not_b32_e32 v0, 63
	v_mad_u32_u24 v0, v2, 3, v0
	s_waitcnt vmcnt(0)
	v_lshrrev_b32_e32 v3, v0, v5
                                        ; implicit-def: $vgpr0_vgpr1
                                        ; implicit-def: $vgpr5
.LBB40_22:
	s_or_saveexec_b64 s[0:1], s[0:1]
	v_mov_b32_e32 v4, s8
	s_xor_b64 exec, exec, s[0:1]
	s_cbranch_execz .LBB40_24
; %bb.23:
	global_load_dword v0, v[0:1], off offset:4
	v_mov_b32_e32 v4, s8
	s_waitcnt vmcnt(0)
	v_alignbit_b32 v0, v0, v5, 28
	v_and_b32_e32 v3, 0xfff, v0
.LBB40_24:
	s_or_b64 exec, exec, s[0:1]
.LBB40_25:
	s_andn2_saveexec_b64 s[6:7], s[6:7]
	s_cbranch_execz .LBB40_27
; %bb.26:
	s_mul_i32 s8, s28, s20
	v_lshl_add_u32 v0, v12, 1, v12
	s_ashr_i32 s0, s8, 31
	v_ashrrev_i32_e32 v1, 31, v0
	s_lshr_b32 s0, s0, 27
	v_lshrrev_b32_e32 v1, 27, v1
	s_add_i32 s0, s8, s0
	v_add_u32_e32 v0, v0, v1
	s_ashr_i32 s0, s0, 5
	v_ashrrev_i32_e32 v0, 5, v0
	v_mad_u64_u32 v[0:1], s[0:1], s0, 3, v[0:1]
	v_ashrrev_i32_e32 v1, 31, v0
	v_lshlrev_b64 v[0:1], 2, v[0:1]
	v_mov_b32_e32 v3, s15
	v_add_co_u32_e64 v0, s[0:1], s14, v0
	v_addc_co_u32_e64 v1, s[0:1], v3, v1, s[0:1]
	global_load_dword v0, v[0:1], off
	v_not_b32_e32 v1, 31
	v_mad_u32_u24 v1, v2, 3, v1
	v_mov_b32_e32 v4, s8
	s_waitcnt vmcnt(0)
	v_lshrrev_b32_e32 v3, v1, v0
.LBB40_27:
	s_or_b64 exec, exec, s[6:7]
.LBB40_28:
	s_andn2_saveexec_b64 s[4:5], s[4:5]
	s_cbranch_execz .LBB40_30
; %bb.29:
	s_mul_i32 s6, s28, s20
	v_lshl_add_u32 v0, v12, 1, v12
	s_ashr_i32 s0, s6, 31
	v_ashrrev_i32_e32 v1, 31, v0
	s_lshr_b32 s0, s0, 27
	v_lshrrev_b32_e32 v1, 27, v1
	s_add_i32 s0, s6, s0
	v_add_u32_e32 v0, v0, v1
	s_ashr_i32 s0, s0, 5
	v_ashrrev_i32_e32 v0, 5, v0
	v_mad_u64_u32 v[0:1], s[0:1], s0, 3, v[0:1]
	v_ashrrev_i32_e32 v1, 31, v0
	v_lshlrev_b64 v[0:1], 2, v[0:1]
	v_mov_b32_e32 v3, s15
	v_add_co_u32_e64 v0, s[0:1], s14, v0
	v_addc_co_u32_e64 v1, s[0:1], v3, v1, s[0:1]
	global_load_dwordx2 v[0:1], v[0:1], off
	s_mov_b32 s0, 0x2010007
	v_mov_b32_e32 v4, s6
	s_waitcnt vmcnt(0)
	v_perm_b32 v0, v0, v1, s0
	v_and_b32_e32 v3, 0xfff, v0
.LBB40_30:
	s_or_b64 exec, exec, s[4:5]
.LBB40_31:
	s_or_saveexec_b64 s[2:3], s[2:3]
	v_lshl_add_u32 v0, v12, 1, v12
	v_ashrrev_i32_e32 v1, 31, v0
	v_mul_u32_u24_e32 v28, 3, v2
	s_xor_b64 exec, exec, s[2:3]
	s_cbranch_execz .LBB40_33
; %bb.32:
	s_mul_i32 s4, s28, s20
	s_ashr_i32 s0, s4, 31
	s_lshr_b32 s0, s0, 27
	v_lshrrev_b32_e32 v3, 27, v1
	s_add_i32 s0, s4, s0
	v_add_u32_e32 v3, v0, v3
	s_ashr_i32 s0, s0, 5
	v_ashrrev_i32_e32 v4, 5, v3
	s_waitcnt vmcnt(0)
	v_mad_u64_u32 v[4:5], s[0:1], s0, 3, v[4:5]
	v_ashrrev_i32_e32 v5, 31, v4
	v_lshlrev_b64 v[4:5], 2, v[4:5]
	v_mov_b32_e32 v3, s15
	v_add_co_u32_e64 v4, s[0:1], s14, v4
	v_addc_co_u32_e64 v5, s[0:1], v3, v5, s[0:1]
	global_load_dword v3, v[4:5], off
	v_mov_b32_e32 v4, s4
	s_waitcnt vmcnt(0)
	v_lshrrev_b32_e32 v3, v28, v3
.LBB40_33:
	s_or_b64 exec, exec, s[2:3]
	s_cmp_ge_i32 s25, s26
	v_mov_b32_e32 v32, 0
	v_mov_b32_e32 v31, 0
	;; [unrolled: 1-line block ×14, first 2 shown]
	s_cbranch_scc1 .LBB40_54
; %bb.34:
	v_add_u32_e32 v4, v4, v12
	s_waitcnt vmcnt(0)
	v_ashrrev_i32_e32 v5, 31, v4
	v_lshlrev_b64 v[4:5], 1, v[4:5]
	v_mov_b32_e32 v6, s17
	v_add_co_u32_e64 v4, s[0:1], s16, v4
	v_addc_co_u32_e64 v5, s[0:1], v6, v5, s[0:1]
	global_load_dwordx2 v[18:19], v[4:5], off
	s_lshr_b32 s0, s25, 5
	s_mul_i32 s0, s0, s20
	s_mul_i32 s6, s0, 3
	s_add_i32 s29, s27, s25
	s_ashr_i32 s7, s6, 31
	s_bitcmp1_b32 s23, 0
	v_lshrrev_b32_e32 v1, 27, v1
	s_cselect_b64 s[0:1], -1, 0
	v_add_u32_e32 v0, v0, v1
	s_xor_b64 s[0:1], s[0:1], -1
	v_ashrrev_i32_e32 v14, 5, v0
	v_not_b32_e32 v0, 63
	s_ashr_i32 s21, s20, 31
	s_lshl_b64 s[6:7], s[6:7], 2
	v_ashrrev_i32_e32 v13, 31, v12
	v_mad_u32_u24 v34, v2, 3, v0
	v_not_b32_e32 v0, 31
	s_add_u32 s6, s12, s6
	v_mad_u32_u24 v35, v2, 3, v0
	v_lshlrev_b64 v[0:1], 2, v[12:13]
	s_addc_u32 s7, s13, s7
	v_cndmask_b32_e64 v33, 0, 1, s[0:1]
	v_cmp_ne_u32_e64 s[0:1], 8, v2
	v_cmp_lt_u32_e64 s[2:3], 16, v2
	v_cmp_ne_u32_e64 s[4:5], 20, v2
	v_mov_b32_e32 v2, s7
	v_add_co_u32_e64 v16, s[6:7], s6, v0
	v_and_b32_e32 v36, 7, v3
	v_bfe_u32 v37, v3, 3, 3
	v_bfe_u32 v38, v3, 6, 3
	;; [unrolled: 1-line block ×3, first 2 shown]
	v_addc_co_u32_e64 v17, s[6:7], v2, v1, s[6:7]
	s_mul_hi_i32 s30, s20, 12
	s_mul_i32 s31, s20, 12
	s_lshl_b64 s[8:9], s[20:21], 2
	s_mov_b32 s21, 0
	v_mov_b32_e32 v13, 0
	s_mov_b32 s33, 0x2010007
	s_mov_b32 s34, 0x64006400
	;; [unrolled: 1-line block ×3, first 2 shown]
	s_movk_i32 s36, 0x3000
	s_movk_i32 s37, 0x2400
	s_mov_b32 s38, 0x7060302
	v_mov_b32_e32 v15, 0
	v_mov_b32_e32 v20, 0
	;; [unrolled: 1-line block ×13, first 2 shown]
	s_branch .LBB40_37
.LBB40_35:                              ;   in Loop: Header=BB40_37 Depth=1
	s_or_b64 exec, exec, s[6:7]
	v_add_u32_e32 v0, s39, v12
	v_ashrrev_i32_e32 v1, 31, v0
	v_lshlrev_b64 v[0:1], 1, v[0:1]
	s_waitcnt vmcnt(0)
	v_mov_b32_e32 v3, s17
	v_add_co_u32_e64 v0, s[6:7], s16, v0
	v_addc_co_u32_e64 v1, s[6:7], v3, v1, s[6:7]
	global_load_dwordx2 v[18:19], v[0:1], off
	s_add_i32 s29, s29, s27
	v_and_b32_e32 v36, 7, v2
	v_bfe_u32 v37, v2, 3, 3
	v_bfe_u32 v38, v2, 6, 3
	;; [unrolled: 1-line block ×3, first 2 shown]
.LBB40_36:                              ;   in Loop: Header=BB40_37 Depth=1
	global_load_dwordx4 v[8:11], v[16:17], off
	v_mov_b32_e32 v2, s9
	v_add_co_u32_e64 v0, s[6:7], s8, v16
	v_addc_co_u32_e64 v1, s[6:7], v17, v2, s[6:7]
	global_load_dwordx4 v[4:7], v[0:1], off
	v_add_co_u32_e64 v0, s[6:7], s8, v0
	v_addc_co_u32_e64 v1, s[6:7], v1, v2, s[6:7]
	global_load_dwordx4 v[0:3], v[0:1], off
	v_add_u32_e32 v40, v36, v33
	v_add_u32_e32 v41, v37, v33
	v_or_b32_e32 v87, 0xffffe400, v40
	v_cvt_f32_i32_e32 v40, v40
	v_or_b32_e32 v86, 0xffffe400, v41
	v_cvt_f32_i32_e32 v41, v41
	v_add_u32_e32 v42, v38, v33
	v_add_u32_e32 v43, v39, v33
	v_or_b32_e32 v83, 0xffffe400, v42
	v_cvt_f32_i32_e32 v42, v42
	v_or_b32_e32 v84, 0xffffe400, v43
	v_cvt_f32_i32_e32 v43, v43
	v_cvt_f16_f32_e32 v48, v40
	v_cvt_f16_f32_e32 v49, v41
	;; [unrolled: 1-line block ×4, first 2 shown]
	v_sub_f16_e32 v72, 0xd800, v48
	v_sub_f16_e32 v81, 0xd800, v49
	v_mov_b32_e32 v96, s21
	v_sub_f16_e32 v85, 0xd800, v50
	v_sub_f16_e32 v105, 0xd800, v51
	;; [unrolled: 1-line block ×6, first 2 shown]
	s_add_i32 s6, s21, 0x400
	s_add_i32 s7, s21, 0x408
	;; [unrolled: 1-line block ×5, first 2 shown]
	s_waitcnt vmcnt(2)
	v_and_b32_e32 v40, 0x70007, v8
	v_and_b32_e32 v41, 0x380038, v8
	;; [unrolled: 1-line block ×3, first 2 shown]
	v_lshrrev_b32_e32 v52, 6, v8
	v_lshrrev_b32_e32 v89, 15, v8
	v_and_b32_e32 v8, 0x70007, v9
	v_lshrrev_b32_e32 v53, 6, v9
	v_lshrrev_b32_e32 v88, 15, v9
	v_and_b32_e32 v43, 0x70007, v10
	v_and_b32_e32 v44, 0x380038, v10
	v_lshrrev_b32_e32 v56, 6, v10
	v_lshrrev_b32_e32 v93, 15, v10
	v_or_b32_e32 v9, 0x64006400, v40
	v_or_b32_e32 v10, 0x64006400, v41
	;; [unrolled: 1-line block ×3, first 2 shown]
	v_and_b32_e32 v45, 0x70007, v11
	v_and_b32_e32 v46, 0x380038, v11
	v_lshrrev_b32_e32 v57, 6, v11
	v_lshrrev_b32_e32 v92, 15, v11
	v_pk_fma_f16 v11, v10, s36, v72 op_sel_hi:[1,0,0]
	v_pk_fma_f16 v10, v40, s36, v81 op_sel_hi:[1,0,0]
	ds_read2_b32 v[40:41], v96 offset1:1
	v_or_b32_e32 v8, 0x64006400, v8
	v_pk_add_f16 v9, v87, v9 op_sel_hi:[0,1]
	s_waitcnt vmcnt(0)
	v_and_b32_e32 v65, 0x70007, v0
	v_and_b32_e32 v66, 0x380038, v0
	v_lshrrev_b32_e32 v91, 6, v0
	v_lshrrev_b32_e32 v104, 13, v0
	v_or_b32_e32 v0, 0x64006400, v43
	v_and_b32_e32 v61, 0x70007, v4
	v_and_b32_e32 v68, 0x380038, v4
	v_lshrrev_b32_e32 v60, 6, v4
	v_lshrrev_b32_e32 v90, 14, v4
	v_and_b32_e32 v70, 0x70007, v6
	v_and_b32_e32 v78, 0x380038, v6
	v_lshrrev_b32_e32 v58, 6, v6
	v_lshrrev_b32_e32 v95, 14, v6
	v_pk_add_f16 v4, v86, v8 op_sel_hi:[0,1]
	v_and_b32_e32 v67, 0x70007, v1
	v_and_b32_e32 v73, 0x380038, v1
	v_lshrrev_b32_e32 v102, 6, v1
	v_lshrrev_b32_e32 v103, 13, v1
	v_or_b32_e32 v1, 0x64006400, v44
	v_pk_add_f16 v6, v83, v0 op_sel_hi:[0,1]
	v_or_b32_e32 v0, 0x64006400, v45
	s_waitcnt lgkmcnt(0)
	v_pk_fma_f16 v42, v9, v40, 0
	v_and_b32_e32 v69, 0x70007, v5
	v_and_b32_e32 v74, 0x380038, v5
	v_lshrrev_b32_e32 v59, 6, v5
	v_lshrrev_b32_e32 v97, 14, v5
	v_and_b32_e32 v71, 0x70007, v7
	v_and_b32_e32 v79, 0x380038, v7
	v_lshrrev_b32_e32 v64, 6, v7
	v_lshrrev_b32_e32 v94, 14, v7
	v_pk_fma_f16 v7, v1, s36, v85 op_sel_hi:[1,0,0]
	v_or_b32_e32 v1, 0x64006400, v46
	v_pk_add_f16 v5, v84, v0 op_sel_hi:[0,1]
	v_pk_fma_f16 v62, v11, v41, v42
	v_pk_fma_f16 v42, v4, v40, 0
	v_pk_fma_f16 v8, v1, s36, v105 op_sel_hi:[1,0,0]
	v_pk_fma_f16 v63, v10, v41, v42
	v_pk_fma_f16 v42, v6, v40, 0
	;; [unrolled: 1-line block ×4, first 2 shown]
	v_and_b32_e32 v40, 0x70007, v52
	v_pk_fma_f16 v82, v7, v41, v42
	v_or_b32_e32 v40, 0x64006400, v40
	v_and_b32_e32 v41, 0x380038, v52
	v_or_b32_e32 v41, 0x64006400, v41
	v_pk_add_f16 v54, v87, v40 op_sel_hi:[0,1]
	v_and_b32_e32 v40, 0x70007, v53
	v_pk_fma_f16 v55, v41, s36, v72 op_sel_hi:[1,0,0]
	v_or_b32_e32 v40, 0x64006400, v40
	v_and_b32_e32 v41, 0x380038, v53
	v_and_b32_e32 v75, 0x70007, v2
	;; [unrolled: 1-line block ×3, first 2 shown]
	v_lshrrev_b32_e32 v100, 6, v2
	v_lshrrev_b32_e32 v101, 13, v2
	v_and_b32_e32 v77, 0x70007, v3
	v_and_b32_e32 v80, 0x380038, v3
	v_lshrrev_b32_e32 v98, 6, v3
	v_lshrrev_b32_e32 v99, 13, v3
	ds_read2_b32 v[46:47], v96 offset0:2 offset1:3
	ds_read2_b32 v[2:3], v96 offset0:4 offset1:5
	;; [unrolled: 1-line block ×3, first 2 shown]
	v_or_b32_e32 v41, 0x64006400, v41
	v_pk_add_f16 v44, v86, v40 op_sel_hi:[0,1]
	v_and_b32_e32 v40, 0x70007, v56
	v_pk_fma_f16 v45, v41, s36, v81 op_sel_hi:[1,0,0]
	v_or_b32_e32 v40, 0x64006400, v40
	v_and_b32_e32 v41, 0x380038, v56
	v_or_b32_e32 v41, 0x64006400, v41
	v_pk_add_f16 v42, v83, v40 op_sel_hi:[0,1]
	v_and_b32_e32 v40, 0x70007, v57
	v_pk_fma_f16 v43, v41, s36, v85 op_sel_hi:[1,0,0]
	v_or_b32_e32 v40, 0x64006400, v40
	v_and_b32_e32 v41, 0x380038, v57
	s_waitcnt lgkmcnt(2)
	v_pk_fma_f16 v62, v54, v46, v62
	v_or_b32_e32 v41, 0x64006400, v41
	v_pk_add_f16 v40, v84, v40 op_sel_hi:[0,1]
	v_pk_fma_f16 v107, v55, v47, v62
	v_pk_fma_f16 v62, v44, v46, v63
	v_pk_fma_f16 v41, v41, s36, v105 op_sel_hi:[1,0,0]
	v_pk_fma_f16 v108, v45, v47, v62
	v_pk_fma_f16 v62, v42, v46, v82
	;; [unrolled: 1-line block ×4, first 2 shown]
	v_and_b32_e32 v46, 0x1c001c0, v52
	v_or_b32_e32 v46, 0x64006400, v46
	v_pk_fma_f16 v82, v43, v47, v62
	v_pk_fma_f16 v62, v46, s37, v112 op_sel_hi:[1,0,0]
	v_and_b32_e32 v46, 0x1c001c0, v53
	v_or_b32_e32 v46, 0x64006400, v46
	v_pk_fma_f16 v50, v46, s37, v113 op_sel_hi:[1,0,0]
	v_and_b32_e32 v46, 0x1c001c0, v56
	v_or_b32_e32 v47, 0x64006400, v61
	v_or_b32_e32 v46, 0x64006400, v46
	v_pk_add_f16 v63, v87, v47 op_sel_hi:[0,1]
	v_or_b32_e32 v47, 0x64006400, v69
	v_pk_fma_f16 v48, v46, s37, v114 op_sel_hi:[1,0,0]
	v_and_b32_e32 v46, 0x1c001c0, v57
	v_pk_add_f16 v51, v86, v47 op_sel_hi:[0,1]
	v_or_b32_e32 v47, 0x64006400, v70
	v_or_b32_e32 v46, 0x64006400, v46
	s_waitcnt lgkmcnt(1)
	v_pk_fma_f16 v52, v62, v2, v107
	v_pk_add_f16 v49, v83, v47 op_sel_hi:[0,1]
	v_or_b32_e32 v47, 0x64006400, v71
	v_pk_fma_f16 v46, v46, s37, v115 op_sel_hi:[1,0,0]
	v_pk_fma_f16 v61, v63, v3, v52
	v_pk_fma_f16 v52, v50, v2, v108
	v_pk_add_f16 v47, v84, v47 op_sel_hi:[0,1]
	v_pk_fma_f16 v69, v51, v3, v52
	v_pk_fma_f16 v52, v48, v2, v82
	;; [unrolled: 1-line block ×5, first 2 shown]
	v_and_b32_e32 v3, 0x70007, v60
	v_or_b32_e32 v3, 0x64006400, v3
	v_pk_add_f16 v70, v87, v3 op_sel_hi:[0,1]
	v_and_b32_e32 v3, 0x70007, v59
	v_or_b32_e32 v2, 0x64006400, v68
	v_or_b32_e32 v3, 0x64006400, v3
	v_pk_fma_f16 v71, v2, s36, v72 op_sel_hi:[1,0,0]
	v_or_b32_e32 v2, 0x64006400, v74
	v_pk_add_f16 v57, v86, v3 op_sel_hi:[0,1]
	v_and_b32_e32 v3, 0x70007, v58
	v_pk_fma_f16 v56, v2, s36, v81 op_sel_hi:[1,0,0]
	v_or_b32_e32 v2, 0x64006400, v78
	v_or_b32_e32 v3, 0x64006400, v3
	v_pk_fma_f16 v52, v2, s36, v85 op_sel_hi:[1,0,0]
	v_pk_add_f16 v53, v83, v3 op_sel_hi:[0,1]
	v_or_b32_e32 v2, 0x64006400, v79
	v_and_b32_e32 v3, 0x70007, v64
	s_waitcnt lgkmcnt(0)
	v_pk_fma_f16 v61, v71, v0, v61
	v_or_b32_e32 v3, 0x64006400, v3
	v_pk_fma_f16 v2, v2, s36, v105 op_sel_hi:[1,0,0]
	v_pk_fma_f16 v74, v70, v1, v61
	v_pk_fma_f16 v61, v56, v0, v69
	v_pk_add_f16 v3, v84, v3 op_sel_hi:[0,1]
	v_pk_fma_f16 v116, v57, v1, v61
	v_pk_fma_f16 v61, v52, v0, v82
	;; [unrolled: 1-line block ×5, first 2 shown]
	v_and_b32_e32 v0, 0x380038, v60
	v_and_b32_e32 v1, 0x1c001c0, v60
	v_or_b32_e32 v0, 0x64006400, v0
	v_or_b32_e32 v1, 0x64006400, v1
	ds_read2_b32 v[78:79], v96 offset0:8 offset1:9
	v_pk_fma_f16 v68, v0, s36, v72 op_sel_hi:[1,0,0]
	v_pk_fma_f16 v69, v1, s37, v112 op_sel_hi:[1,0,0]
	v_and_b32_e32 v0, 0x380038, v59
	v_and_b32_e32 v1, 0x1c001c0, v59
	v_or_b32_e32 v0, 0x64006400, v0
	v_or_b32_e32 v1, 0x64006400, v1
	v_pk_fma_f16 v60, v0, s36, v81 op_sel_hi:[1,0,0]
	v_pk_fma_f16 v61, v1, s37, v113 op_sel_hi:[1,0,0]
	v_and_b32_e32 v0, 0x380038, v58
	v_and_b32_e32 v1, 0x1c001c0, v58
	v_or_b32_e32 v0, 0x64006400, v0
	v_or_b32_e32 v1, 0x64006400, v1
	v_pk_fma_f16 v58, v0, s36, v85 op_sel_hi:[1,0,0]
	v_pk_fma_f16 v59, v1, s37, v114 op_sel_hi:[1,0,0]
	v_and_b32_e32 v0, 0x380038, v64
	v_and_b32_e32 v1, 0x1c001c0, v64
	s_waitcnt lgkmcnt(0)
	v_pk_fma_f16 v64, v68, v78, v74
	v_or_b32_e32 v0, 0x64006400, v0
	v_pk_fma_f16 v118, v69, v79, v64
	v_pk_fma_f16 v64, v60, v78, v116
	v_or_b32_e32 v1, 0x64006400, v1
	v_pk_fma_f16 v0, v0, s36, v105 op_sel_hi:[1,0,0]
	v_pk_fma_f16 v116, v61, v79, v64
	v_pk_fma_f16 v64, v58, v78, v82
	v_pk_fma_f16 v1, v1, s37, v115 op_sel_hi:[1,0,0]
	ds_read2_b32 v[106:107], v96 offset0:10 offset1:11
	ds_read2_b32 v[108:109], v96 offset0:12 offset1:13
	;; [unrolled: 1-line block ×3, first 2 shown]
	v_pk_fma_f16 v82, v59, v79, v64
	v_pk_fma_f16 v64, v0, v78, v117
	;; [unrolled: 1-line block ×3, first 2 shown]
	v_or_b32_e32 v64, 0x64006400, v65
	v_or_b32_e32 v65, 0x64006400, v66
	v_pk_add_f16 v78, v87, v64 op_sel_hi:[0,1]
	v_or_b32_e32 v64, 0x64006400, v67
	v_pk_fma_f16 v79, v65, s36, v72 op_sel_hi:[1,0,0]
	v_or_b32_e32 v65, 0x64006400, v73
	v_pk_add_f16 v73, v86, v64 op_sel_hi:[0,1]
	v_or_b32_e32 v64, 0x64006400, v75
	s_waitcnt lgkmcnt(2)
	v_pk_fma_f16 v75, v78, v106, v118
	v_pk_fma_f16 v74, v65, s36, v81 op_sel_hi:[1,0,0]
	v_or_b32_e32 v65, 0x64006400, v76
	v_pk_add_f16 v66, v83, v64 op_sel_hi:[0,1]
	v_or_b32_e32 v64, 0x64006400, v77
	v_pk_fma_f16 v118, v79, v107, v75
	v_pk_fma_f16 v75, v73, v106, v116
	v_pk_fma_f16 v67, v65, s36, v85 op_sel_hi:[1,0,0]
	v_or_b32_e32 v65, 0x64006400, v80
	v_pk_add_f16 v64, v84, v64 op_sel_hi:[0,1]
	v_pk_fma_f16 v116, v74, v107, v75
	v_pk_fma_f16 v75, v66, v106, v82
	v_pk_fma_f16 v65, v65, s36, v105 op_sel_hi:[1,0,0]
	v_pk_fma_f16 v119, v67, v107, v75
	v_pk_fma_f16 v75, v64, v106, v117
	;; [unrolled: 1-line block ×3, first 2 shown]
	v_and_b32_e32 v75, 0x380038, v91
	v_or_b32_e32 v75, 0x64006400, v75
	v_pk_fma_f16 v82, v75, s36, v72 op_sel_hi:[1,0,0]
	v_and_b32_e32 v72, 0x380038, v102
	v_or_b32_e32 v72, 0x64006400, v72
	v_and_b32_e32 v90, 0x20002, v90
	v_pk_fma_f16 v80, v72, s36, v81 op_sel_hi:[1,0,0]
	v_and_b32_e32 v72, 0x380038, v100
	v_and_b32_e32 v76, 0x70007, v91
	v_and_or_b32 v89, v89, s35, v90
	v_and_b32_e32 v90, 0x40004, v104
	v_or_b32_e32 v72, 0x64006400, v72
	v_or_b32_e32 v76, 0x64006400, v76
	v_or3_b32 v89, v89, v90, s34
	v_pk_fma_f16 v75, v72, s36, v85 op_sel_hi:[1,0,0]
	v_pk_add_f16 v85, v87, v76 op_sel_hi:[0,1]
	v_and_b32_e32 v90, 0x1c001c0, v91
	v_pk_add_f16 v91, v87, v89 op_sel_hi:[0,1]
	v_and_b32_e32 v87, 0x20002, v97
	v_and_b32_e32 v76, 0x70007, v102
	v_and_or_b32 v87, v88, s35, v87
	v_and_b32_e32 v88, 0x40004, v103
	v_or_b32_e32 v76, 0x64006400, v76
	v_or3_b32 v87, v87, v88, s34
	v_pk_add_f16 v81, v86, v76 op_sel_hi:[0,1]
	v_pk_add_f16 v89, v86, v87 op_sel_hi:[0,1]
	v_and_b32_e32 v86, 0x20002, v95
	v_and_b32_e32 v76, 0x70007, v100
	v_and_or_b32 v86, v93, s35, v86
	v_and_b32_e32 v87, 0x40004, v101
	v_or_b32_e32 v76, 0x64006400, v76
	v_or3_b32 v87, v86, v87, s34
	v_pk_add_f16 v77, v83, v76 op_sel_hi:[0,1]
	v_pk_add_f16 v87, v83, v87 op_sel_hi:[0,1]
	v_and_b32_e32 v83, 0x20002, v94
	v_and_or_b32 v83, v92, s35, v83
	v_and_b32_e32 v92, 0x40004, v99
	v_and_b32_e32 v72, 0x380038, v98
	;; [unrolled: 1-line block ×3, first 2 shown]
	v_or3_b32 v92, v83, v92, s34
	v_and_b32_e32 v83, 0x1c001c0, v98
	ds_read2_b32 v[98:99], v96 offset0:64 offset1:65
	v_or_b32_e32 v72, 0x64006400, v72
	v_or_b32_e32 v76, 0x64006400, v76
	v_pk_fma_f16 v72, v72, s36, v105 op_sel_hi:[1,0,0]
	v_pk_add_f16 v76, v84, v76 op_sel_hi:[0,1]
	s_waitcnt lgkmcnt(2)
	v_pk_fma_f16 v105, v85, v108, v118
	v_or_b32_e32 v90, 0x64006400, v90
	v_pk_fma_f16 v105, v82, v109, v105
	v_pk_fma_f16 v106, v76, v108, v106
	v_pk_fma_f16 v90, v90, s37, v112 op_sel_hi:[1,0,0]
	v_and_b32_e32 v88, 0x1c001c0, v102
	v_or_b32_e32 v83, 0x64006400, v83
	v_pk_fma_f16 v107, v81, v108, v116
	v_pk_fma_f16 v106, v72, v109, v106
	v_or_b32_e32 v88, 0x64006400, v88
	v_and_b32_e32 v86, 0x1c001c0, v100
	v_pk_fma_f16 v83, v83, s37, v115 op_sel_hi:[1,0,0]
	v_pk_add_f16 v84, v84, v92 op_sel_hi:[0,1]
	s_waitcnt lgkmcnt(1)
	v_pk_fma_f16 v92, v90, v110, v105
	ds_read2_b32 v[100:101], v96 offset0:66 offset1:67
	ds_read2_b32 v[102:103], v96 offset0:68 offset1:69
	;; [unrolled: 1-line block ×3, first 2 shown]
	v_pk_fma_f16 v107, v80, v109, v107
	v_pk_fma_f16 v88, v88, s37, v113 op_sel_hi:[1,0,0]
	v_pk_fma_f16 v95, v83, v110, v106
	s_waitcnt lgkmcnt(3)
	v_pk_fma_f16 v106, v4, v98, 0
	v_pk_fma_f16 v93, v88, v110, v107
	;; [unrolled: 1-line block ×9, first 2 shown]
	s_waitcnt lgkmcnt(2)
	v_pk_fma_f16 v99, v44, v100, v106
	v_pk_fma_f16 v99, v45, v101, v99
	;; [unrolled: 1-line block ×5, first 2 shown]
	s_waitcnt lgkmcnt(1)
	v_pk_fma_f16 v99, v50, v102, v99
	v_pk_fma_f16 v97, v54, v100, v97
	;; [unrolled: 1-line block ×7, first 2 shown]
	s_waitcnt lgkmcnt(0)
	v_pk_fma_f16 v99, v56, v104, v99
	v_pk_fma_f16 v98, v47, v103, v98
	;; [unrolled: 1-line block ×7, first 2 shown]
	ds_read2_b32 v[98:99], v96 offset0:72 offset1:73
	v_pk_fma_f16 v97, v62, v102, v97
	v_pk_fma_f16 v97, v63, v103, v97
	;; [unrolled: 1-line block ×6, first 2 shown]
	ds_read2_b32 v[100:101], v96 offset0:74 offset1:75
	ds_read2_b32 v[102:103], v96 offset0:76 offset1:77
	;; [unrolled: 1-line block ×3, first 2 shown]
	s_waitcnt lgkmcnt(3)
	v_pk_fma_f16 v97, v68, v98, v97
	v_pk_fma_f16 v106, v60, v98, v106
	v_pk_fma_f16 v107, v58, v98, v107
	v_pk_fma_f16 v98, v0, v98, v108
	v_pk_fma_f16 v97, v69, v99, v97
	v_pk_fma_f16 v106, v61, v99, v106
	v_pk_fma_f16 v107, v59, v99, v107
	v_pk_fma_f16 v98, v1, v99, v98
	s_waitcnt lgkmcnt(2)
	v_pk_fma_f16 v97, v78, v100, v97
	v_pk_fma_f16 v99, v73, v100, v106
	v_pk_fma_f16 v106, v66, v100, v107
	v_pk_fma_f16 v98, v64, v100, v98
	v_pk_fma_f16 v97, v79, v101, v97
	v_pk_fma_f16 v99, v74, v101, v99
	v_pk_fma_f16 v106, v67, v101, v106
	v_pk_fma_f16 v98, v65, v101, v98
	;; [unrolled: 9-line block ×3, first 2 shown]
	ds_read2_b32 v[102:103], v96 offset0:128 offset1:129
	v_or_b32_e32 v86, 0x64006400, v86
	v_pk_fma_f16 v86, v86, s37, v114 op_sel_hi:[1,0,0]
	s_waitcnt lgkmcnt(1)
	v_pk_fma_f16 v98, v88, v104, v99
	v_pk_fma_f16 v97, v90, v104, v97
	;; [unrolled: 1-line block ×9, first 2 shown]
	ds_read2_b32 v[104:105], v96 offset0:130 offset1:131
	ds_read2_b32 v[106:107], v96 offset0:132 offset1:133
	;; [unrolled: 1-line block ×3, first 2 shown]
	v_pk_fma_f16 v94, v89, v111, v93
	v_pk_fma_f16 v93, v86, v110, v116
	s_waitcnt lgkmcnt(3)
	v_pk_fma_f16 v110, v4, v102, 0
	v_pk_fma_f16 v92, v91, v111, v92
	;; [unrolled: 1-line block ×11, first 2 shown]
	s_waitcnt lgkmcnt(2)
	v_pk_fma_f16 v103, v44, v104, v110
	v_pk_fma_f16 v103, v45, v105, v103
	;; [unrolled: 1-line block ×5, first 2 shown]
	s_waitcnt lgkmcnt(1)
	v_pk_fma_f16 v103, v50, v106, v103
	v_pk_fma_f16 v101, v54, v104, v101
	;; [unrolled: 1-line block ×7, first 2 shown]
	s_waitcnt lgkmcnt(0)
	v_pk_fma_f16 v103, v56, v108, v103
	v_pk_fma_f16 v102, v47, v107, v102
	;; [unrolled: 1-line block ×7, first 2 shown]
	ds_read2_b32 v[102:103], v96 offset0:136 offset1:137
	v_pk_fma_f16 v101, v62, v106, v101
	v_pk_fma_f16 v101, v63, v107, v101
	;; [unrolled: 1-line block ×5, first 2 shown]
	ds_read2_b32 v[104:105], v96 offset0:138 offset1:139
	ds_read2_b32 v[106:107], v96 offset0:140 offset1:141
	;; [unrolled: 1-line block ×3, first 2 shown]
	s_waitcnt lgkmcnt(3)
	v_pk_fma_f16 v101, v68, v102, v101
	v_pk_fma_f16 v110, v60, v102, v110
	v_pk_fma_f16 v111, v58, v102, v111
	v_pk_fma_f16 v102, v0, v102, v112
	v_pk_fma_f16 v101, v69, v103, v101
	v_pk_fma_f16 v110, v61, v103, v110
	v_pk_fma_f16 v111, v59, v103, v111
	v_pk_fma_f16 v102, v1, v103, v102
	s_waitcnt lgkmcnt(2)
	v_pk_fma_f16 v101, v78, v104, v101
	v_pk_fma_f16 v103, v73, v104, v110
	v_pk_fma_f16 v110, v66, v104, v111
	v_pk_fma_f16 v102, v64, v104, v102
	v_pk_fma_f16 v101, v79, v105, v101
	v_pk_fma_f16 v103, v74, v105, v103
	v_pk_fma_f16 v110, v67, v105, v110
	v_pk_fma_f16 v102, v65, v105, v102
	;; [unrolled: 9-line block ×3, first 2 shown]
	ds_read2_b32 v[106:107], v96 offset0:192 offset1:193
	s_waitcnt lgkmcnt(1)
	v_pk_fma_f16 v102, v88, v108, v103
	v_pk_fma_f16 v101, v90, v108, v101
	;; [unrolled: 1-line block ×8, first 2 shown]
	ds_read2_b32 v[108:109], v96 offset0:194 offset1:195
	ds_read2_b32 v[110:111], v96 offset0:196 offset1:197
	ds_read2_b32 v[112:113], v96 offset0:198 offset1:199
	s_waitcnt lgkmcnt(3)
	v_pk_fma_f16 v114, v4, v106, 0
	v_pk_fma_f16 v105, v9, v106, 0
	;; [unrolled: 1-line block ×8, first 2 shown]
	s_waitcnt lgkmcnt(2)
	v_pk_fma_f16 v107, v44, v108, v114
	v_pk_fma_f16 v107, v45, v109, v107
	;; [unrolled: 1-line block ×5, first 2 shown]
	s_waitcnt lgkmcnt(1)
	v_pk_fma_f16 v107, v50, v110, v107
	v_pk_fma_f16 v105, v54, v108, v105
	;; [unrolled: 1-line block ×7, first 2 shown]
	s_waitcnt lgkmcnt(0)
	v_pk_fma_f16 v107, v56, v112, v107
	v_pk_fma_f16 v106, v47, v111, v106
	v_pk_fma_f16 v114, v57, v113, v107
	v_pk_fma_f16 v107, v52, v112, v108
	v_pk_fma_f16 v105, v55, v109, v105
	v_pk_fma_f16 v115, v53, v113, v107
	v_pk_fma_f16 v108, v2, v112, v106
	ds_read2_b32 v[106:107], v96 offset0:200 offset1:201
	v_pk_fma_f16 v105, v62, v110, v105
	v_pk_fma_f16 v105, v63, v111, v105
	;; [unrolled: 1-line block ×5, first 2 shown]
	ds_read2_b32 v[108:109], v96 offset0:202 offset1:203
	ds_read2_b32 v[110:111], v96 offset0:204 offset1:205
	;; [unrolled: 1-line block ×3, first 2 shown]
	s_waitcnt lgkmcnt(3)
	v_pk_fma_f16 v96, v68, v106, v105
	v_pk_fma_f16 v105, v60, v106, v114
	v_pk_fma_f16 v105, v61, v107, v105
	v_pk_fma_f16 v114, v58, v106, v115
	v_pk_fma_f16 v106, v0, v106, v116
	v_pk_fma_f16 v114, v59, v107, v114
	v_pk_fma_f16 v106, v1, v107, v106
	s_waitcnt lgkmcnt(2)
	v_pk_fma_f16 v105, v73, v108, v105
	v_pk_fma_f16 v96, v69, v107, v96
	v_pk_fma_f16 v105, v74, v109, v105
	v_pk_fma_f16 v107, v66, v108, v114
	v_pk_fma_f16 v106, v64, v108, v106
	v_pk_fma_f16 v107, v67, v109, v107
	v_pk_fma_f16 v106, v65, v109, v106
	;; [unrolled: 8-line block ×3, first 2 shown]
	s_waitcnt lgkmcnt(0)
	v_pk_fma_f16 v105, v88, v112, v105
	v_pk_fma_f16 v106, v89, v113, v105
	;; [unrolled: 1-line block ×4, first 2 shown]
	v_mov_b32_e32 v108, s6
	v_pk_fma_f16 v96, v79, v109, v96
	ds_read2_b32 v[108:109], v108 offset1:1
	v_pk_fma_f16 v96, v85, v110, v96
	v_pk_fma_f16 v96, v82, v111, v96
	;; [unrolled: 1-line block ×3, first 2 shown]
	v_mov_b32_e32 v110, s7
	v_mov_b32_e32 v112, s10
	;; [unrolled: 1-line block ×3, first 2 shown]
	v_pk_fma_f16 v96, v91, v113, v96
	v_pk_fma_f16 v105, v87, v113, v105
	;; [unrolled: 1-line block ×3, first 2 shown]
	ds_read2_b32 v[110:111], v110 offset1:1
	ds_read2_b32 v[112:113], v112 offset1:1
	ds_read2_b32 v[114:115], v114 offset1:1
	s_waitcnt lgkmcnt(3)
	v_pk_fma_f16 v116, v9, v108, 0
	v_pk_fma_f16 v116, v11, v109, v116
	v_pk_fma_f16 v117, v4, v108, 0
	v_pk_fma_f16 v118, v6, v108, 0
	v_pk_fma_f16 v108, v5, v108, 0
	v_pk_fma_f16 v117, v10, v109, v117
	v_pk_fma_f16 v118, v7, v109, v118
	v_pk_fma_f16 v108, v8, v109, v108
	s_waitcnt lgkmcnt(2)
	v_pk_fma_f16 v109, v54, v110, v116
	v_pk_fma_f16 v109, v55, v111, v109
	v_pk_fma_f16 v116, v44, v110, v117
	v_pk_fma_f16 v108, v40, v110, v108
	v_pk_fma_f16 v116, v45, v111, v116
	v_pk_fma_f16 v117, v42, v110, v118
	v_pk_fma_f16 v108, v41, v111, v108
	s_waitcnt lgkmcnt(1)
	v_pk_fma_f16 v109, v62, v112, v109
	v_pk_fma_f16 v117, v43, v111, v117
	v_pk_fma_f16 v109, v63, v113, v109
	v_pk_fma_f16 v110, v50, v112, v116
	v_pk_fma_f16 v108, v46, v112, v108
	v_pk_fma_f16 v110, v51, v113, v110
	v_pk_fma_f16 v111, v48, v112, v117
	v_pk_fma_f16 v108, v47, v113, v108
	s_waitcnt lgkmcnt(0)
	v_pk_fma_f16 v109, v71, v114, v109
	v_pk_fma_f16 v111, v49, v113, v111
	v_pk_fma_f16 v116, v70, v115, v109
	v_pk_fma_f16 v109, v56, v114, v110
	v_pk_fma_f16 v108, v2, v114, v108
	s_add_i32 s6, s21, 0x420
	v_pk_fma_f16 v117, v57, v115, v109
	v_pk_fma_f16 v109, v52, v114, v111
	v_pk_fma_f16 v119, v3, v115, v108
	v_mov_b32_e32 v108, s6
	v_pk_fma_f16 v118, v53, v115, v109
	ds_read2_b32 v[108:109], v108 offset1:1
	s_add_i32 s7, s21, 0x428
	s_add_i32 s10, s21, 0x430
	s_add_i32 s11, s21, 0x438
	v_mov_b32_e32 v110, s7
	v_mov_b32_e32 v112, s10
	v_mov_b32_e32 v114, s11
	ds_read2_b32 v[110:111], v110 offset1:1
	ds_read2_b32 v[112:113], v112 offset1:1
	ds_read2_b32 v[114:115], v114 offset1:1
	s_waitcnt lgkmcnt(3)
	v_pk_fma_f16 v116, v68, v108, v116
	v_pk_fma_f16 v116, v69, v109, v116
	v_pk_fma_f16 v117, v60, v108, v117
	v_pk_fma_f16 v118, v58, v108, v118
	v_pk_fma_f16 v108, v0, v108, v119
	v_pk_fma_f16 v117, v61, v109, v117
	v_pk_fma_f16 v118, v59, v109, v118
	v_pk_fma_f16 v108, v1, v109, v108
	s_waitcnt lgkmcnt(2)
	v_pk_fma_f16 v109, v78, v110, v116
	v_pk_fma_f16 v109, v79, v111, v109
	v_pk_fma_f16 v116, v73, v110, v117
	v_pk_fma_f16 v108, v64, v110, v108
	v_pk_fma_f16 v116, v74, v111, v116
	v_pk_fma_f16 v117, v66, v110, v118
	v_pk_fma_f16 v108, v65, v111, v108
	s_waitcnt lgkmcnt(1)
	v_pk_fma_f16 v109, v85, v112, v109
	v_pk_fma_f16 v117, v67, v111, v117
	v_pk_fma_f16 v109, v82, v113, v109
	v_pk_fma_f16 v110, v81, v112, v116
	v_pk_fma_f16 v108, v76, v112, v108
	v_pk_fma_f16 v110, v80, v113, v110
	v_pk_fma_f16 v111, v77, v112, v117
	v_pk_fma_f16 v108, v72, v113, v108
	s_waitcnt lgkmcnt(0)
	v_pk_fma_f16 v109, v90, v114, v109
	v_pk_fma_f16 v111, v75, v113, v111
	v_pk_fma_f16 v116, v91, v115, v109
	v_pk_fma_f16 v109, v88, v114, v110
	v_pk_fma_f16 v108, v83, v114, v108
	s_add_i32 s6, s21, 0x500
	v_pk_fma_f16 v117, v89, v115, v109
	v_pk_fma_f16 v109, v86, v114, v111
	v_pk_fma_f16 v119, v84, v115, v108
	v_mov_b32_e32 v108, s6
	v_pk_fma_f16 v118, v87, v115, v109
	ds_read2_b32 v[108:109], v108 offset1:1
	s_add_i32 s7, s21, 0x508
	s_add_i32 s10, s21, 0x510
	s_add_i32 s11, s21, 0x518
	v_mov_b32_e32 v110, s7
	v_mov_b32_e32 v112, s10
	v_mov_b32_e32 v114, s11
	;; [unrolled: 48-line block ×3, first 2 shown]
	ds_read2_b32 v[110:111], v110 offset1:1
	ds_read2_b32 v[112:113], v112 offset1:1
	;; [unrolled: 1-line block ×3, first 2 shown]
	s_waitcnt lgkmcnt(3)
	v_pk_fma_f16 v120, v68, v108, v120
	v_pk_fma_f16 v121, v60, v108, v121
	v_pk_fma_f16 v122, v58, v108, v122
	v_pk_fma_f16 v108, v0, v108, v123
	v_pk_fma_f16 v120, v69, v109, v120
	v_pk_fma_f16 v121, v61, v109, v121
	v_pk_fma_f16 v122, v59, v109, v122
	v_pk_fma_f16 v108, v1, v109, v108
	s_waitcnt lgkmcnt(2)
	v_pk_fma_f16 v109, v78, v110, v120
	v_pk_fma_f16 v120, v73, v110, v121
	;; [unrolled: 1-line block ×8, first 2 shown]
	s_waitcnt lgkmcnt(1)
	v_pk_fma_f16 v109, v85, v112, v109
	v_pk_fma_f16 v110, v81, v112, v120
	;; [unrolled: 1-line block ×4, first 2 shown]
	v_pack_b32_f16 v112, v92, v94
	v_perm_b32 v92, v94, v92, s38
	v_pk_add_f16 v92, v112, v92
	v_pk_fma_f16 v32, v92, v18, v32
	v_pack_b32_f16 v92, v93, v95
	v_perm_b32 v93, v95, v93, s38
	v_pk_add_f16 v92, v92, v93
	v_pk_fma_f16 v31, v92, v19, v31
	;; [unrolled: 4-line block ×8, first 2 shown]
	v_pack_b32_f16 v92, v116, v117
	v_perm_b32 v93, v117, v116, s38
	v_pk_fma_f16 v109, v82, v113, v109
	v_pk_fma_f16 v110, v80, v113, v110
	v_pk_add_f16 v92, v92, v93
	s_waitcnt lgkmcnt(0)
	v_pk_fma_f16 v109, v90, v114, v109
	v_pk_fma_f16 v110, v88, v114, v110
	;; [unrolled: 1-line block ×3, first 2 shown]
	v_pack_b32_f16 v92, v118, v119
	v_perm_b32 v93, v119, v118, s38
	v_pk_fma_f16 v111, v75, v113, v111
	v_pk_fma_f16 v108, v72, v113, v108
	;; [unrolled: 1-line block ×4, first 2 shown]
	v_pk_add_f16 v92, v92, v93
	v_pk_fma_f16 v111, v86, v114, v111
	v_pk_fma_f16 v108, v83, v114, v108
	;; [unrolled: 1-line block ×3, first 2 shown]
	v_pack_b32_f16 v92, v109, v110
	v_perm_b32 v93, v110, v109, s38
	v_pk_fma_f16 v111, v87, v115, v111
	v_pk_fma_f16 v108, v84, v115, v108
	v_pk_add_f16 v92, v92, v93
	v_pk_fma_f16 v21, v92, v18, v21
	v_pack_b32_f16 v92, v111, v108
	v_perm_b32 v93, v108, v111, s38
	v_pk_add_f16 v92, v92, v93
	s_add_i32 s6, s21, 0x600
	v_pk_fma_f16 v20, v92, v19, v20
	v_mov_b32_e32 v92, s6
	ds_read2_b32 v[92:93], v92 offset1:1
	s_add_i32 s7, s21, 0x608
	s_add_i32 s10, s21, 0x610
	s_add_i32 s11, s21, 0x618
	v_mov_b32_e32 v94, s7
	v_mov_b32_e32 v96, s10
	;; [unrolled: 1-line block ×3, first 2 shown]
	ds_read2_b32 v[94:95], v94 offset1:1
	ds_read2_b32 v[96:97], v96 offset1:1
	;; [unrolled: 1-line block ×3, first 2 shown]
	s_waitcnt lgkmcnt(3)
	v_pk_fma_f16 v9, v9, v92, 0
	v_pk_fma_f16 v9, v11, v93, v9
	;; [unrolled: 1-line block ×3, first 2 shown]
	s_waitcnt lgkmcnt(2)
	v_pk_fma_f16 v9, v54, v94, v9
	s_add_i32 s6, s21, 0x620
	v_pk_fma_f16 v4, v10, v93, v4
	v_pk_fma_f16 v9, v55, v95, v9
	v_mov_b32_e32 v11, s6
	v_pk_fma_f16 v4, v44, v94, v4
	s_waitcnt lgkmcnt(1)
	v_pk_fma_f16 v9, v62, v96, v9
	ds_read2_b32 v[54:55], v11 offset1:1
	v_pk_fma_f16 v4, v45, v95, v4
	v_pk_fma_f16 v9, v63, v97, v9
	;; [unrolled: 1-line block ×3, first 2 shown]
	s_waitcnt lgkmcnt(1)
	v_pk_fma_f16 v9, v71, v98, v9
	s_add_i32 s7, s21, 0x628
	s_add_i32 s10, s21, 0x630
	v_pk_fma_f16 v4, v51, v97, v4
	v_pk_fma_f16 v9, v70, v99, v9
	s_add_i32 s11, s21, 0x638
	v_mov_b32_e32 v62, s7
	v_mov_b32_e32 v70, s10
	v_pk_fma_f16 v4, v56, v98, v4
	v_mov_b32_e32 v11, s11
	ds_read2_b32 v[62:63], v62 offset1:1
	ds_read2_b32 v[70:71], v70 offset1:1
	ds_read2_b32 v[100:101], v11 offset1:1
	v_pk_fma_f16 v4, v57, v99, v4
	s_waitcnt lgkmcnt(3)
	v_pk_fma_f16 v9, v68, v54, v9
	v_pk_fma_f16 v4, v60, v54, v4
	v_pk_fma_f16 v9, v69, v55, v9
	v_pk_fma_f16 v4, v61, v55, v4
	s_waitcnt lgkmcnt(2)
	v_pk_fma_f16 v9, v78, v62, v9
	v_pk_fma_f16 v4, v73, v62, v4
	v_pk_fma_f16 v9, v79, v63, v9
	;; [unrolled: 5-line block ×4, first 2 shown]
	v_pk_fma_f16 v4, v89, v101, v4
	v_pack_b32_f16 v10, v9, v4
	v_perm_b32 v4, v4, v9, s38
	v_pk_add_f16 v4, v10, v4
	v_pk_fma_f16 v15, v4, v18, v15
	v_pk_fma_f16 v4, v6, v92, 0
	;; [unrolled: 1-line block ×33, first 2 shown]
	v_pack_b32_f16 v1, v4, v0
	v_perm_b32 v0, v0, v4, s38
	v_pk_add_f16 v0, v1, v0
	v_pk_fma_f16 v13, v0, v19, v13
	v_mov_b32_e32 v0, s30
	s_add_i32 s21, s21, 64
	v_add_co_u32_e64 v16, s[6:7], s31, v16
	s_cmp_ge_i32 s25, s26
	v_addc_co_u32_e64 v17, s[6:7], v17, v0, s[6:7]
	s_cbranch_scc1 .LBB40_54
.LBB40_37:                              ; =>This Inner Loop Header: Depth=1
	s_cmp_lg_u32 s25, s29
	s_cbranch_scc1 .LBB40_36
; %bb.38:                               ;   in Loop: Header=BB40_37 Depth=1
	s_add_i32 s28, s28, 1
	s_mul_i32 s39, s28, s20
	s_ashr_i32 s6, s39, 31
	s_lshr_b32 s6, s6, 27
	s_add_i32 s6, s39, s6
	s_ashr_i32 s6, s6, 5
	v_mad_u64_u32 v[0:1], s[6:7], s6, 3, v[14:15]
	v_ashrrev_i32_e32 v1, 31, v0
	v_lshlrev_b64 v[0:1], 2, v[0:1]
	v_mov_b32_e32 v2, s15
	v_add_co_u32_e64 v0, s[6:7], s14, v0
	v_addc_co_u32_e64 v1, s[6:7], v2, v1, s[6:7]
	global_load_dword v3, v[0:1], off
                                        ; implicit-def: $vgpr2
	s_and_saveexec_b64 s[6:7], vcc
	s_xor_b64 s[6:7], exec, s[6:7]
	s_cbranch_execz .LBB40_52
; %bb.39:                               ;   in Loop: Header=BB40_37 Depth=1
                                        ; implicit-def: $vgpr2
	s_and_saveexec_b64 s[10:11], s[0:1]
	s_xor_b64 s[10:11], exec, s[10:11]
	s_cbranch_execz .LBB40_49
; %bb.40:                               ;   in Loop: Header=BB40_37 Depth=1
                                        ; implicit-def: $vgpr2
	s_and_saveexec_b64 s[12:13], s[2:3]
	;; [unrolled: 5-line block ×3, first 2 shown]
	s_xor_b64 s[22:23], exec, s[22:23]
	s_cbranch_execz .LBB40_43
; %bb.42:                               ;   in Loop: Header=BB40_37 Depth=1
	s_waitcnt vmcnt(0)
	v_lshrrev_b32_e32 v2, v34, v3
                                        ; implicit-def: $vgpr0_vgpr1
                                        ; implicit-def: $vgpr3
.LBB40_43:                              ;   in Loop: Header=BB40_37 Depth=1
	s_andn2_saveexec_b64 s[22:23], s[22:23]
	s_cbranch_execz .LBB40_45
; %bb.44:                               ;   in Loop: Header=BB40_37 Depth=1
	global_load_dword v0, v[0:1], off offset:4
	s_waitcnt vmcnt(0)
	v_alignbit_b32 v0, v0, v3, 28
	v_and_b32_e32 v2, 0xfff, v0
.LBB40_45:                              ;   in Loop: Header=BB40_37 Depth=1
	s_or_b64 exec, exec, s[22:23]
                                        ; implicit-def: $vgpr3
.LBB40_46:                              ;   in Loop: Header=BB40_37 Depth=1
	s_andn2_saveexec_b64 s[12:13], s[12:13]
	s_cbranch_execz .LBB40_48
; %bb.47:                               ;   in Loop: Header=BB40_37 Depth=1
	s_waitcnt vmcnt(0)
	v_lshrrev_b32_e32 v2, v35, v3
.LBB40_48:                              ;   in Loop: Header=BB40_37 Depth=1
	s_or_b64 exec, exec, s[12:13]
                                        ; implicit-def: $vgpr0_vgpr1
                                        ; implicit-def: $vgpr3
.LBB40_49:                              ;   in Loop: Header=BB40_37 Depth=1
	s_andn2_saveexec_b64 s[10:11], s[10:11]
	s_cbranch_execz .LBB40_51
; %bb.50:                               ;   in Loop: Header=BB40_37 Depth=1
	global_load_dword v0, v[0:1], off offset:4
	s_waitcnt vmcnt(0)
	v_perm_b32 v0, v3, v0, s33
	v_and_b32_e32 v2, 0xfff, v0
.LBB40_51:                              ;   in Loop: Header=BB40_37 Depth=1
	s_or_b64 exec, exec, s[10:11]
                                        ; implicit-def: $vgpr3
.LBB40_52:                              ;   in Loop: Header=BB40_37 Depth=1
	s_andn2_saveexec_b64 s[6:7], s[6:7]
	s_cbranch_execz .LBB40_35
; %bb.53:                               ;   in Loop: Header=BB40_37 Depth=1
	s_waitcnt vmcnt(0)
	v_lshrrev_b32_e32 v2, v28, v3
	s_branch .LBB40_35
.LBB40_54:
	s_mul_i32 s24, s24, s20
	v_add_u32_e32 v0, s24, v12
	v_ashrrev_i32_e32 v1, 31, v0
	v_lshlrev_b64 v[2:3], 1, v[0:1]
	v_mov_b32_e32 v1, s19
	v_add_co_u32_e32 v2, vcc, s18, v2
	v_addc_co_u32_e32 v3, vcc, v1, v3, vcc
	global_load_dword v5, v[2:3], off
	s_mov_b64 s[0:1], 0
.LBB40_55:                              ; =>This Inner Loop Header: Depth=1
	s_waitcnt vmcnt(0)
	v_pk_add_f16 v4, v32, v5
	global_atomic_cmpswap v1, v[2:3], v[4:5], off glc
	s_waitcnt vmcnt(0)
	v_cmp_eq_u32_e32 vcc, v5, v1
	s_or_b64 s[0:1], vcc, s[0:1]
	v_mov_b32_e32 v5, v1
	s_andn2_b64 exec, exec, s[0:1]
	s_cbranch_execnz .LBB40_55
; %bb.56:
	s_or_b64 exec, exec, s[0:1]
	global_load_dword v5, v[2:3], off offset:4
	s_mov_b64 s[0:1], 0
.LBB40_57:                              ; =>This Inner Loop Header: Depth=1
	s_waitcnt vmcnt(0)
	v_pk_add_f16 v4, v31, v5
	global_atomic_cmpswap v1, v[2:3], v[4:5], off offset:4 glc
	s_waitcnt vmcnt(0)
	v_cmp_eq_u32_e32 vcc, v5, v1
	s_or_b64 s[0:1], vcc, s[0:1]
	v_mov_b32_e32 v5, v1
	s_andn2_b64 exec, exec, s[0:1]
	s_cbranch_execnz .LBB40_57
; %bb.58:
	s_or_b64 exec, exec, s[0:1]
	v_add_u32_e32 v0, s20, v0
	v_ashrrev_i32_e32 v1, 31, v0
	v_lshlrev_b64 v[2:3], 1, v[0:1]
	v_mov_b32_e32 v1, s19
	v_add_co_u32_e32 v2, vcc, s18, v2
	v_addc_co_u32_e32 v3, vcc, v1, v3, vcc
	global_load_dword v5, v[2:3], off
	s_mov_b64 s[0:1], 0
.LBB40_59:                              ; =>This Inner Loop Header: Depth=1
	s_waitcnt vmcnt(0)
	v_pk_add_f16 v4, v30, v5
	global_atomic_cmpswap v1, v[2:3], v[4:5], off glc
	s_waitcnt vmcnt(0)
	v_cmp_eq_u32_e32 vcc, v5, v1
	s_or_b64 s[0:1], vcc, s[0:1]
	v_mov_b32_e32 v5, v1
	s_andn2_b64 exec, exec, s[0:1]
	s_cbranch_execnz .LBB40_59
; %bb.60:
	s_or_b64 exec, exec, s[0:1]
	global_load_dword v5, v[2:3], off offset:4
	s_mov_b64 s[0:1], 0
.LBB40_61:                              ; =>This Inner Loop Header: Depth=1
	s_waitcnt vmcnt(0)
	v_pk_add_f16 v4, v29, v5
	global_atomic_cmpswap v1, v[2:3], v[4:5], off offset:4 glc
	s_waitcnt vmcnt(0)
	v_cmp_eq_u32_e32 vcc, v5, v1
	s_or_b64 s[0:1], vcc, s[0:1]
	v_mov_b32_e32 v5, v1
	s_andn2_b64 exec, exec, s[0:1]
	s_cbranch_execnz .LBB40_61
; %bb.62:
	s_or_b64 exec, exec, s[0:1]
	;; [unrolled: 34-line block ×6, first 2 shown]
	v_add_u32_e32 v0, s20, v0
	v_ashrrev_i32_e32 v1, 31, v0
	v_lshlrev_b64 v[0:1], 1, v[0:1]
	v_mov_b32_e32 v2, s19
	v_add_co_u32_e32 v0, vcc, s18, v0
	v_addc_co_u32_e32 v1, vcc, v2, v1, vcc
	global_load_dword v3, v[0:1], off
	s_mov_b64 s[0:1], 0
.LBB40_79:                              ; =>This Inner Loop Header: Depth=1
	s_waitcnt vmcnt(0)
	v_pk_add_f16 v2, v15, v3
	global_atomic_cmpswap v2, v[0:1], v[2:3], off glc
	s_waitcnt vmcnt(0)
	v_cmp_eq_u32_e32 vcc, v3, v2
	s_or_b64 s[0:1], vcc, s[0:1]
	v_mov_b32_e32 v3, v2
	s_andn2_b64 exec, exec, s[0:1]
	s_cbranch_execnz .LBB40_79
; %bb.80:
	s_or_b64 exec, exec, s[0:1]
	global_load_dword v3, v[0:1], off offset:4
	s_mov_b64 s[0:1], 0
.LBB40_81:                              ; =>This Inner Loop Header: Depth=1
	s_waitcnt vmcnt(0)
	v_pk_add_f16 v2, v13, v3
	global_atomic_cmpswap v2, v[0:1], v[2:3], off offset:4 glc
	s_waitcnt vmcnt(0)
	v_cmp_eq_u32_e32 vcc, v3, v2
	s_or_b64 s[0:1], vcc, s[0:1]
	v_mov_b32_e32 v3, v2
	s_andn2_b64 exec, exec, s[0:1]
	s_cbranch_execnz .LBB40_81
.LBB40_82:
	s_endpgm
	.section	.rodata,"a",@progbits
	.p2align	6, 0x0
	.amdhsa_kernel _ZN4vllm4gptq33gemm_half_q_half_gptq_3bit_kernelILb1ELi7EEEvPK6__halfPKjS6_S4_PS2_iiiibPKi
		.amdhsa_group_segment_fixed_size 1792
		.amdhsa_private_segment_fixed_size 0
		.amdhsa_kernarg_size 72
		.amdhsa_user_sgpr_count 6
		.amdhsa_user_sgpr_private_segment_buffer 1
		.amdhsa_user_sgpr_dispatch_ptr 0
		.amdhsa_user_sgpr_queue_ptr 0
		.amdhsa_user_sgpr_kernarg_segment_ptr 1
		.amdhsa_user_sgpr_dispatch_id 0
		.amdhsa_user_sgpr_flat_scratch_init 0
		.amdhsa_user_sgpr_kernarg_preload_length 0
		.amdhsa_user_sgpr_kernarg_preload_offset 0
		.amdhsa_user_sgpr_private_segment_size 0
		.amdhsa_uses_dynamic_stack 0
		.amdhsa_system_sgpr_private_segment_wavefront_offset 0
		.amdhsa_system_sgpr_workgroup_id_x 1
		.amdhsa_system_sgpr_workgroup_id_y 1
		.amdhsa_system_sgpr_workgroup_id_z 1
		.amdhsa_system_sgpr_workgroup_info 0
		.amdhsa_system_vgpr_workitem_id 0
		.amdhsa_next_free_vgpr 124
		.amdhsa_next_free_sgpr 40
		.amdhsa_accum_offset 124
		.amdhsa_reserve_vcc 1
		.amdhsa_reserve_flat_scratch 0
		.amdhsa_float_round_mode_32 0
		.amdhsa_float_round_mode_16_64 0
		.amdhsa_float_denorm_mode_32 3
		.amdhsa_float_denorm_mode_16_64 3
		.amdhsa_dx10_clamp 1
		.amdhsa_ieee_mode 1
		.amdhsa_fp16_overflow 0
		.amdhsa_tg_split 0
		.amdhsa_exception_fp_ieee_invalid_op 0
		.amdhsa_exception_fp_denorm_src 0
		.amdhsa_exception_fp_ieee_div_zero 0
		.amdhsa_exception_fp_ieee_overflow 0
		.amdhsa_exception_fp_ieee_underflow 0
		.amdhsa_exception_fp_ieee_inexact 0
		.amdhsa_exception_int_div_zero 0
	.end_amdhsa_kernel
	.section	.text._ZN4vllm4gptq33gemm_half_q_half_gptq_3bit_kernelILb1ELi7EEEvPK6__halfPKjS6_S4_PS2_iiiibPKi,"axG",@progbits,_ZN4vllm4gptq33gemm_half_q_half_gptq_3bit_kernelILb1ELi7EEEvPK6__halfPKjS6_S4_PS2_iiiibPKi,comdat
.Lfunc_end40:
	.size	_ZN4vllm4gptq33gemm_half_q_half_gptq_3bit_kernelILb1ELi7EEEvPK6__halfPKjS6_S4_PS2_iiiibPKi, .Lfunc_end40-_ZN4vllm4gptq33gemm_half_q_half_gptq_3bit_kernelILb1ELi7EEEvPK6__halfPKjS6_S4_PS2_iiiibPKi
                                        ; -- End function
	.section	.AMDGPU.csdata,"",@progbits
; Kernel info:
; codeLenInByte = 10372
; NumSgprs: 44
; NumVgprs: 124
; NumAgprs: 0
; TotalNumVgprs: 124
; ScratchSize: 0
; MemoryBound: 0
; FloatMode: 240
; IeeeMode: 1
; LDSByteSize: 1792 bytes/workgroup (compile time only)
; SGPRBlocks: 5
; VGPRBlocks: 15
; NumSGPRsForWavesPerEU: 44
; NumVGPRsForWavesPerEU: 124
; AccumOffset: 124
; Occupancy: 4
; WaveLimiterHint : 0
; COMPUTE_PGM_RSRC2:SCRATCH_EN: 0
; COMPUTE_PGM_RSRC2:USER_SGPR: 6
; COMPUTE_PGM_RSRC2:TRAP_HANDLER: 0
; COMPUTE_PGM_RSRC2:TGID_X_EN: 1
; COMPUTE_PGM_RSRC2:TGID_Y_EN: 1
; COMPUTE_PGM_RSRC2:TGID_Z_EN: 1
; COMPUTE_PGM_RSRC2:TIDIG_COMP_CNT: 0
; COMPUTE_PGM_RSRC3_GFX90A:ACCUM_OFFSET: 30
; COMPUTE_PGM_RSRC3_GFX90A:TG_SPLIT: 0
	.section	.text._ZN4vllm4gptq33gemm_half_q_half_gptq_4bit_kernelILb1ELi7EEEvPK6__halfPKjS6_S4_PS2_iiiibPKi,"axG",@progbits,_ZN4vllm4gptq33gemm_half_q_half_gptq_4bit_kernelILb1ELi7EEEvPK6__halfPKjS6_S4_PS2_iiiibPKi,comdat
	.protected	_ZN4vllm4gptq33gemm_half_q_half_gptq_4bit_kernelILb1ELi7EEEvPK6__halfPKjS6_S4_PS2_iiiibPKi ; -- Begin function _ZN4vllm4gptq33gemm_half_q_half_gptq_4bit_kernelILb1ELi7EEEvPK6__halfPKjS6_S4_PS2_iiiibPKi
	.globl	_ZN4vllm4gptq33gemm_half_q_half_gptq_4bit_kernelILb1ELi7EEEvPK6__halfPKjS6_S4_PS2_iiiibPKi
	.p2align	8
	.type	_ZN4vllm4gptq33gemm_half_q_half_gptq_4bit_kernelILb1ELi7EEEvPK6__halfPKjS6_S4_PS2_iiiibPKi,@function
_ZN4vllm4gptq33gemm_half_q_half_gptq_4bit_kernelILb1ELi7EEEvPK6__halfPKjS6_S4_PS2_iiiibPKi: ; @_ZN4vllm4gptq33gemm_half_q_half_gptq_4bit_kernelILb1ELi7EEEvPK6__halfPKjS6_S4_PS2_iiiibPKi
; %bb.0:
	s_mov_b64 s[30:31], s[2:3]
	s_load_dwordx8 s[12:19], s[4:5], 0x8
	s_load_dwordx4 s[20:23], s[4:5], 0x2c
	s_mov_b64 s[28:29], s[0:1]
	s_add_u32 s28, s28, s9
	s_addc_u32 s29, s29, 0
	s_lshl_b32 s24, s8, 7
	s_add_i32 s0, s24, 0x80
	v_cvt_f64_u32_e32 v[2:3], s0
	s_waitcnt lgkmcnt(0)
	v_cvt_f64_i32_e32 v[4:5], s21
	v_min_f64 v[2:3], v[2:3], v[4:5]
	v_cvt_i32_f64_e32 v1, v[2:3]
	v_add_u32_e32 v2, s24, v0
	s_mul_i32 s7, s7, 7
	v_readfirstlane_b32 s25, v1
	v_cmp_lt_u32_e32 vcc, v2, v1
	s_and_saveexec_b64 s[2:3], vcc
	s_cbranch_execz .LBB41_16
; %bb.1:
	s_load_dwordx2 s[0:1], s[4:5], 0x40
	s_load_dwordx2 s[8:9], s[4:5], 0x0
	v_mov_b32_e32 v3, 0
	v_lshlrev_b64 v[4:5], 2, v[2:3]
	v_pk_mov_b32 v[6:7], v[2:3], v[2:3] op_sel:[0,1]
	s_waitcnt lgkmcnt(0)
	s_cmp_lg_u64 s[0:1], 0
	v_mov_b32_e32 v1, s1
	v_add_co_u32_e32 v4, vcc, s0, v4
	s_cselect_b64 s[4:5], -1, 0
	s_cmp_eq_u64 s[0:1], 0
	v_addc_co_u32_e32 v5, vcc, v1, v5, vcc
	s_cbranch_scc1 .LBB41_3
; %bb.2:
	global_load_dword v6, v[4:5], off
	s_waitcnt vmcnt(0)
	v_ashrrev_i32_e32 v7, 31, v6
.LBB41_3:
	s_mul_i32 s10, s7, s21
	s_ashr_i32 s11, s10, 31
	s_lshl_b64 s[0:1], s[10:11], 1
	s_add_u32 s0, s8, s0
	s_addc_u32 s1, s9, s1
	v_lshlrev_b64 v[6:7], 1, v[6:7]
	v_mov_b32_e32 v1, s1
	v_add_co_u32_e32 v6, vcc, s0, v6
	v_addc_co_u32_e32 v7, vcc, v1, v7, vcc
	global_load_ushort v6, v[6:7], off
	v_lshlrev_b32_e32 v1, 1, v0
	v_cndmask_b32_e64 v7, 0, 1, s[4:5]
	v_cmp_ne_u32_e64 s[0:1], 1, v7
	s_andn2_b64 vcc, exec, s[4:5]
	s_waitcnt vmcnt(0)
	ds_write_b16 v1, v6
	v_pk_mov_b32 v[6:7], v[2:3], v[2:3] op_sel:[0,1]
	s_cbranch_vccnz .LBB41_5
; %bb.4:
	global_load_dword v6, v[4:5], off
	s_waitcnt vmcnt(0)
	v_ashrrev_i32_e32 v7, 31, v6
.LBB41_5:
	s_add_i32 s4, s10, s21
	s_ashr_i32 s5, s4, 31
	s_lshl_b64 s[10:11], s[4:5], 1
	s_add_u32 s5, s8, s10
	s_addc_u32 s10, s9, s11
	v_lshlrev_b64 v[6:7], 1, v[6:7]
	v_mov_b32_e32 v8, s10
	v_add_co_u32_e32 v6, vcc, s5, v6
	v_addc_co_u32_e32 v7, vcc, v8, v7, vcc
	global_load_ushort v6, v[6:7], off
	s_and_b64 vcc, exec, s[0:1]
	s_waitcnt vmcnt(0)
	ds_write_b16 v1, v6 offset:256
	v_pk_mov_b32 v[6:7], v[2:3], v[2:3] op_sel:[0,1]
	s_cbranch_vccnz .LBB41_7
; %bb.6:
	global_load_dword v6, v[4:5], off
	s_waitcnt vmcnt(0)
	v_ashrrev_i32_e32 v7, 31, v6
.LBB41_7:
	s_add_i32 s4, s4, s21
	s_ashr_i32 s5, s4, 31
	s_lshl_b64 s[10:11], s[4:5], 1
	s_add_u32 s5, s8, s10
	s_addc_u32 s10, s9, s11
	v_lshlrev_b64 v[6:7], 1, v[6:7]
	v_mov_b32_e32 v8, s10
	v_add_co_u32_e32 v6, vcc, s5, v6
	v_addc_co_u32_e32 v7, vcc, v8, v7, vcc
	global_load_ushort v6, v[6:7], off
	s_and_b64 vcc, exec, s[0:1]
	s_waitcnt vmcnt(0)
	ds_write_b16 v1, v6 offset:512
	;; [unrolled: 20-line block ×5, first 2 shown]
	s_cbranch_vccnz .LBB41_15
; %bb.14:
	global_load_dword v2, v[4:5], off
	s_waitcnt vmcnt(0)
	v_ashrrev_i32_e32 v3, 31, v2
.LBB41_15:
	s_add_i32 s0, s4, s21
	s_ashr_i32 s1, s0, 31
	s_lshl_b64 s[0:1], s[0:1], 1
	s_add_u32 s0, s8, s0
	s_addc_u32 s1, s9, s1
	v_lshlrev_b64 v[2:3], 1, v[2:3]
	v_mov_b32_e32 v4, s1
	v_add_co_u32_e32 v2, vcc, s0, v2
	v_addc_co_u32_e32 v3, vcc, v4, v3, vcc
	global_load_ushort v2, v[2:3], off
	s_waitcnt vmcnt(0)
	ds_write_b16 v1, v2 offset:1536
.LBB41_16:
	s_or_b64 exec, exec, s[2:3]
	v_lshlrev_b32_e32 v1, 2, v0
	v_lshl_add_u32 v4, s6, 9, v1
	v_mov_b32_e32 v2, v4
	v_cmp_gt_i32_e32 vcc, s20, v4
	buffer_store_dword v2, off, s[28:31], 0 offset:112 ; 4-byte Folded Spill
	s_nop 0
	buffer_store_dword v3, off, s[28:31], 0 offset:116 ; 4-byte Folded Spill
	s_and_saveexec_b64 s[0:1], vcc
	s_cbranch_execz .LBB41_51
; %bb.17:
	s_abs_i32 s0, s22
	v_cvt_f32_u32_e32 v1, s0
	s_mov_b32 s4, 0
	v_mov_b32_e32 v29, 0
	v_mov_b32_e32 v28, 0
	v_rcp_iflag_f32_e32 v1, v1
	v_mov_b32_e32 v23, 0
	v_mov_b32_e32 v22, 0
	s_cmp_ge_i32 s24, s25
	v_mul_f32_e32 v1, 0x4f7ffffe, v1
	v_cvt_u32_f32_e32 v1, v1
	v_mov_b32_e32 v21, 0
	v_mov_b32_e32 v20, 0
	;; [unrolled: 1-line block ×3, first 2 shown]
	v_readfirstlane_b32 s1, v1
	v_mov_b32_e32 v16, 0
	v_mov_b32_e32 v11, 0
	;; [unrolled: 1-line block ×7, first 2 shown]
	s_waitcnt lgkmcnt(0)
	s_barrier
	s_cbranch_scc1 .LBB41_23
; %bb.18:
	buffer_load_dword v2, off, s[28:31], 0 offset:112 ; 4-byte Folded Reload
	buffer_load_dword v3, off, s[28:31], 0 offset:116 ; 4-byte Folded Reload
	s_sub_i32 s6, 0, s0
	s_mul_i32 s6, s6, s1
	s_mul_hi_u32 s6, s1, s6
	s_abs_i32 s5, s21
	s_add_i32 s1, s1, s6
	s_ashr_i32 s2, s21, 31
	s_ashr_i32 s3, s22, 31
	s_mul_hi_u32 s1, s5, s1
	s_xor_b32 s2, s2, s3
	s_mul_i32 s3, s1, s0
	s_sub_i32 s3, s5, s3
	s_add_i32 s5, s1, 1
	s_sub_i32 s6, s3, s0
	s_cmp_ge_u32 s3, s0
	s_cselect_b32 s1, s5, s1
	s_cselect_b32 s3, s6, s3
	s_add_i32 s5, s1, 1
	s_cmp_ge_u32 s3, s0
	s_cselect_b32 s0, s5, s1
	s_xor_b32 s0, s0, s2
	s_sub_i32 s5, s0, s2
	v_cvt_f32_u32_e32 v1, s5
	s_bitcmp1_b32 s23, 0
	s_cselect_b64 s[0:1], -1, 0
	s_sub_i32 s2, 0, s5
	v_rcp_iflag_f32_e32 v1, v1
	s_xor_b64 s[0:1], s[0:1], -1
	v_mov_b32_e32 v6, 0
	s_movk_i32 s9, 0x2c00
	v_mul_f32_e32 v1, 0x4f7ffffe, v1
	v_cvt_u32_f32_e32 v1, v1
	v_mov_b32_e32 v7, v6
	v_mov_b32_e32 v12, v6
	;; [unrolled: 1-line block ×3, first 2 shown]
	v_readfirstlane_b32 s3, v1
	s_mul_i32 s2, s2, s3
	s_mul_hi_u32 s2, s3, s2
	s_add_i32 s3, s3, s2
	s_mul_hi_u32 s2, s24, s3
	s_mul_i32 s3, s2, s5
	s_sub_i32 s3, s24, s3
	s_add_i32 s6, s2, 1
	s_sub_i32 s8, s3, s5
	s_cmp_ge_u32 s3, s5
	s_cselect_b32 s2, s6, s2
	s_cselect_b32 s3, s8, s3
	s_add_i32 s6, s2, 1
	s_cmp_ge_u32 s3, s5
	s_cselect_b32 s6, s6, s2
	s_mul_i32 s2, s6, s20
	s_ashr_i32 s3, s2, 31
	s_lshr_b32 s3, s3, 29
	v_mov_b32_e32 v1, s17
	s_mov_b32 s8, 0x5040100
	v_mov_b32_e32 v46, v6
	v_mov_b32_e32 v47, v6
	;; [unrolled: 1-line block ×24, first 2 shown]
	s_waitcnt vmcnt(1)
	v_mov_b32_e32 v8, v2
	v_ashrrev_i32_e32 v9, 31, v8
	v_lshrrev_b32_e32 v2, 29, v9
	v_add_u32_e32 v2, v8, v2
	v_ashrrev_i32_e32 v4, 3, v2
	v_add_u32_e32 v2, s2, v8
	s_add_i32 s2, s2, s3
	s_waitcnt vmcnt(0)
	v_ashrrev_i32_e32 v3, 31, v2
	s_ashr_i32 s2, s2, 3
	v_lshlrev_b64 v[2:3], 1, v[2:3]
	buffer_store_dword v4, off, s[28:31], 0 offset:120 ; 4-byte Folded Spill
	v_add_u32_e32 v4, s2, v4
	v_add_co_u32_e32 v2, vcc, s16, v2
	v_ashrrev_i32_e32 v5, 31, v4
	v_addc_co_u32_e32 v3, vcc, v1, v3, vcc
	v_lshlrev_b64 v[4:5], 2, v[4:5]
	v_mov_b32_e32 v1, s15
	v_add_co_u32_e32 v4, vcc, s14, v4
	v_addc_co_u32_e32 v5, vcc, v1, v5, vcc
	global_load_dword v4, v[4:5], off
	v_lshlrev_b32_e32 v5, 4, v0
	global_load_dwordx2 v[2:3], v[2:3], off
	v_mov_b32_e32 v0, v8
	buffer_store_dword v0, off, s[28:31], 0 offset:112 ; 4-byte Folded Spill
	s_nop 0
	buffer_store_dword v1, off, s[28:31], 0 offset:116 ; 4-byte Folded Spill
	v_lshlrev_b64 v[0:1], 2, v[8:9]
	v_cndmask_b32_e64 v9, 0, 1, s[0:1]
	s_lshr_b32 s0, s24, 3
	s_mul_i32 s0, s0, s20
	s_ashr_i32 s1, s0, 31
	s_lshl_b64 s[0:1], s[0:1], 2
	s_add_u32 s11, s12, s0
	s_addc_u32 s0, s13, s1
	v_and_b32_e32 v10, 16, v5
	v_mov_b32_e32 v8, s0
	v_add_co_u32_e32 v16, vcc, s11, v0
	v_addc_co_u32_e32 v17, vcc, v8, v1, vcc
	buffer_store_dword v9, off, s[28:31], 0 offset:128 ; 4-byte Folded Spill
	s_ashr_i32 s21, s20, 31
	s_add_i32 s10, s5, s24
	s_lshl_b64 s[0:1], s[20:21], 4
	s_lshl_b64 s[2:3], s[20:21], 2
	buffer_store_dword v10, off, s[28:31], 0 offset:124 ; 4-byte Folded Spill
	s_waitcnt vmcnt(5)
	v_lshrrev_b32_e32 v0, v5, v4
	v_bfe_u32 v1, v4, v10, 4
	s_waitcnt vmcnt(4)
	v_cvt_f32_f16_e32 v20, v2
	v_cvt_f32_f16_sdwa v21, v2 dst_sel:DWORD dst_unused:UNUSED_PAD src0_sel:WORD_1
	v_cvt_f32_f16_e32 v22, v3
	v_cvt_f32_f16_sdwa v23, v3 dst_sel:DWORD dst_unused:UNUSED_PAD src0_sel:WORD_1
	v_bfe_u32 v2, v0, 12, 4
	v_bfe_u32 v3, v0, 8, 4
	;; [unrolled: 1-line block ×3, first 2 shown]
	v_add_u32_e32 v1, v1, v9
	v_add_u32_e32 v2, v2, v9
	;; [unrolled: 1-line block ×4, first 2 shown]
	v_cvt_f32_ubyte0_e32 v4, v1
	v_or_b32_e32 v1, 0xffffe400, v1
	v_cvt_f32_ubyte0_e32 v5, v2
	v_or_b32_e32 v2, 0xffffe400, v2
	;; [unrolled: 2-line block ×3, first 2 shown]
	v_cvt_f32_ubyte0_e32 v9, v0
	v_cvt_f16_f32_e32 v4, v4
	v_perm_b32 v48, v1, v1, s8
	v_cvt_f16_f32_e32 v1, v5
	v_perm_b32 v51, v2, v2, s8
	v_cvt_f16_f32_e32 v2, v8
	v_perm_b32 v50, v3, v3, s8
	v_cvt_f16_f32_e32 v3, v9
	v_or_b32_e32 v0, 0xffffe400, v0
	v_perm_b32 v49, v0, v0, s8
	v_sub_f16_e32 v0, 0xd400, v4
	v_sub_f16_e32 v1, 0xd400, v1
	v_sub_f16_e32 v2, 0xd400, v2
	v_sub_f16_e32 v3, 0xd400, v3
	v_pack_b32_f16 v52, v0, v0
	v_pack_b32_f16 v55, v1, v1
	;; [unrolled: 1-line block ×4, first 2 shown]
	s_branch .LBB41_20
.LBB41_19:                              ;   in Loop: Header=BB41_20 Depth=1
	global_load_dwordx4 v[0:3], v[16:17], off
	v_mov_b32_e32 v73, s4
	ds_read2_b32 v[4:5], v73 offset1:1
	ds_read2_b32 v[8:9], v73 offset0:2 offset1:3
	ds_read2_b32 v[40:41], v73 offset0:64 offset1:65
	;; [unrolled: 1-line block ×3, first 2 shown]
	v_mov_b32_e32 v107, s3
	s_add_i32 s11, s4, 0x400
	s_add_i32 s24, s24, 32
	s_waitcnt vmcnt(0)
	v_and_b32_e32 v44, 0xf000f, v0
	v_and_b32_e32 v45, 0xf000f0, v0
	v_lshrrev_b32_e32 v0, 8, v0
	v_and_b32_e32 v46, 0xf000f, v1
	v_and_b32_e32 v47, 0xf000f0, v1
	v_lshrrev_b32_e32 v1, 8, v1
	v_or_b32_e32 v44, 0x64006400, v44
	v_and_b32_e32 v60, 0xf000f, v0
	v_and_b32_e32 v0, 0xf000f0, v0
	v_or_b32_e32 v46, 0x64006400, v46
	v_and_b32_e32 v61, 0xf000f, v1
	v_and_b32_e32 v1, 0xf000f0, v1
	;; [unrolled: 1-line block ×4, first 2 shown]
	v_lshrrev_b32_e32 v2, 8, v2
	v_and_b32_e32 v58, 0xf000f, v3
	v_and_b32_e32 v59, 0xf000f0, v3
	v_lshrrev_b32_e32 v3, 8, v3
	v_or_b32_e32 v45, 0x64006400, v45
	v_or_b32_e32 v47, 0x64006400, v47
	v_or_b32_e32 v0, 0x64006400, v0
	v_pk_add_f16 v44, v48, v44
	v_or_b32_e32 v1, 0x64006400, v1
	v_pk_add_f16 v46, v49, v46
	v_or_b32_e32 v56, 0x64006400, v56
	v_and_b32_e32 v62, 0xf000f, v2
	v_and_b32_e32 v2, 0xf000f0, v2
	v_or_b32_e32 v58, 0x64006400, v58
	v_and_b32_e32 v63, 0xf000f, v3
	v_and_b32_e32 v3, 0xf000f0, v3
	v_or_b32_e32 v60, 0x64006400, v60
	v_pk_fma_f16 v45, v45, s9, v52 op_sel_hi:[1,0,1]
	v_or_b32_e32 v61, 0x64006400, v61
	v_pk_fma_f16 v47, v47, s9, v53 op_sel_hi:[1,0,1]
	v_pk_fma_f16 v64, v0, s9, v52 op_sel_hi:[1,0,1]
	;; [unrolled: 1-line block ×3, first 2 shown]
	s_waitcnt lgkmcnt(3)
	v_pk_fma_f16 v0, v44, v4, 0
	v_pk_fma_f16 v1, v46, v4, 0
	v_or_b32_e32 v57, 0x64006400, v57
	v_or_b32_e32 v59, 0x64006400, v59
	;; [unrolled: 1-line block ×3, first 2 shown]
	v_pk_add_f16 v56, v50, v56
	v_or_b32_e32 v3, 0x64006400, v3
	v_pk_add_f16 v58, v51, v58
	v_pk_add_f16 v60, v48, v60
	;; [unrolled: 1-line block ×3, first 2 shown]
	v_pk_fma_f16 v0, v45, v5, v0
	v_pk_fma_f16 v1, v47, v5, v1
	v_or_b32_e32 v62, 0x64006400, v62
	v_pk_fma_f16 v57, v57, s9, v54 op_sel_hi:[1,0,1]
	v_or_b32_e32 v63, 0x64006400, v63
	v_pk_fma_f16 v59, v59, s9, v55 op_sel_hi:[1,0,1]
	v_pk_fma_f16 v68, v2, s9, v54 op_sel_hi:[1,0,1]
	;; [unrolled: 1-line block ×3, first 2 shown]
	v_pk_fma_f16 v2, v56, v4, 0
	v_pk_fma_f16 v3, v58, v4, 0
	s_waitcnt lgkmcnt(2)
	v_pk_fma_f16 v0, v60, v8, v0
	v_pk_fma_f16 v1, v65, v8, v1
	v_pk_add_f16 v62, v50, v62
	v_pk_add_f16 v63, v51, v63
	s_waitcnt lgkmcnt(1)
	v_pk_fma_f16 v4, v44, v40, 0
	v_pk_fma_f16 v2, v57, v5, v2
	;; [unrolled: 1-line block ×5, first 2 shown]
	ds_read2_b32 v[0:1], v73 offset0:128 offset1:129
	v_pk_fma_f16 v61, v46, v40, 0
	v_pk_fma_f16 v67, v56, v40, 0
	;; [unrolled: 1-line block ×8, first 2 shown]
	s_waitcnt lgkmcnt(1)
	v_pk_fma_f16 v4, v60, v42, v4
	v_pk_fma_f16 v99, v68, v9, v2
	;; [unrolled: 1-line block ×3, first 2 shown]
	ds_read2_b32 v[2:3], v73 offset0:130 offset1:131
	v_pk_fma_f16 v8, v62, v42, v61
	v_pk_fma_f16 v61, v64, v43, v4
	;; [unrolled: 1-line block ×5, first 2 shown]
	ds_read2_b32 v[8:9], v73 offset0:194 offset1:195
	v_pk_fma_f16 v93, v69, v43, v4
	s_waitcnt lgkmcnt(2)
	v_pk_fma_f16 v4, v44, v0, 0
	v_pk_fma_f16 v4, v45, v1, v4
	s_waitcnt lgkmcnt(1)
	v_pk_fma_f16 v4, v60, v2, v4
	v_pk_fma_f16 v77, v64, v3, v4
	;; [unrolled: 1-line block ×12, first 2 shown]
	buffer_store_dword v4, off, s[28:31], 0 offset:104 ; 4-byte Folded Spill
	ds_read2_b32 v[4:5], v73 offset0:192 offset1:193
	v_pk_fma_f16 v0, v58, v0, 0
	v_pk_fma_f16 v0, v59, v1, v0
	;; [unrolled: 1-line block ×4, first 2 shown]
	buffer_store_dword v0, off, s[28:31], 0 offset:108 ; 4-byte Folded Spill
	s_waitcnt lgkmcnt(0)
	v_pk_fma_f16 v0, v44, v4, 0
	v_pk_fma_f16 v0, v45, v5, v0
	;; [unrolled: 1-line block ×3, first 2 shown]
	v_add_co_u32_e32 v0, vcc, s2, v16
	v_addc_co_u32_e32 v1, vcc, v17, v107, vcc
	global_load_dwordx4 v[40:43], v[0:1], off
	v_pk_fma_f16 v2, v64, v9, v2
	buffer_store_dword v2, off, s[28:31], 0 offset:80 ; 4-byte Folded Spill
	v_pk_fma_f16 v2, v46, v4, 0
	v_pk_fma_f16 v2, v47, v5, v2
	;; [unrolled: 1-line block ×4, first 2 shown]
	buffer_store_dword v2, off, s[28:31], 0 offset:84 ; 4-byte Folded Spill
	v_pk_fma_f16 v2, v56, v4, 0
	v_pk_fma_f16 v2, v57, v5, v2
	;; [unrolled: 1-line block ×4, first 2 shown]
	buffer_store_dword v2, off, s[28:31], 0 offset:72 ; 4-byte Folded Spill
	v_pk_fma_f16 v2, v58, v4, 0
	v_pk_fma_f16 v70, v59, v5, v2
	v_mov_b32_e32 v2, s11
	ds_read2_b32 v[2:3], v2 offset1:1
	s_add_i32 s11, s4, 0x408
	v_mov_b32_e32 v4, s11
	ds_read2_b32 v[4:5], v4 offset1:1
	v_pk_fma_f16 v8, v63, v8, v70
	v_pk_fma_f16 v8, v69, v9, v8
	buffer_store_dword v8, off, s[28:31], 0 offset:76 ; 4-byte Folded Spill
	s_waitcnt lgkmcnt(1)
	v_pk_fma_f16 v8, v44, v2, 0
	v_pk_fma_f16 v8, v45, v3, v8
	s_waitcnt lgkmcnt(0)
	v_pk_fma_f16 v8, v60, v4, v8
	v_pk_fma_f16 v8, v64, v5, v8
	buffer_store_dword v8, off, s[28:31], 0 offset:64 ; 4-byte Folded Spill
	v_pk_fma_f16 v8, v46, v2, 0
	v_pk_fma_f16 v8, v47, v3, v8
	;; [unrolled: 1-line block ×4, first 2 shown]
	buffer_store_dword v8, off, s[28:31], 0 offset:68 ; 4-byte Folded Spill
	v_pk_fma_f16 v8, v56, v2, 0
	v_pk_fma_f16 v8, v57, v3, v8
	;; [unrolled: 1-line block ×3, first 2 shown]
	s_add_i32 s11, s4, 0x500
	v_pk_fma_f16 v8, v62, v4, v8
	v_pk_fma_f16 v70, v59, v3, v2
	v_mov_b32_e32 v2, s11
	v_pk_fma_f16 v8, v68, v5, v8
	ds_read2_b32 v[2:3], v2 offset1:1
	s_add_i32 s11, s4, 0x508
	buffer_store_dword v8, off, s[28:31], 0 offset:56 ; 4-byte Folded Spill
	v_mov_b32_e32 v8, s11
	ds_read2_b32 v[8:9], v8 offset1:1
	v_pk_fma_f16 v4, v63, v4, v70
	v_pk_fma_f16 v4, v69, v5, v4
	buffer_store_dword v4, off, s[28:31], 0 offset:60 ; 4-byte Folded Spill
	s_waitcnt lgkmcnt(1)
	v_pk_fma_f16 v4, v44, v2, 0
	v_pk_fma_f16 v4, v45, v3, v4
	s_waitcnt lgkmcnt(0)
	v_pk_fma_f16 v4, v60, v8, v4
	v_pk_fma_f16 v4, v64, v9, v4
	buffer_store_dword v4, off, s[28:31], 0 offset:48 ; 4-byte Folded Spill
	v_pk_fma_f16 v4, v46, v2, 0
	v_pk_fma_f16 v4, v47, v3, v4
	;; [unrolled: 1-line block ×4, first 2 shown]
	buffer_store_dword v4, off, s[28:31], 0 offset:52 ; 4-byte Folded Spill
	v_pk_fma_f16 v4, v56, v2, 0
	v_pk_fma_f16 v4, v57, v3, v4
	;; [unrolled: 1-line block ×3, first 2 shown]
	s_add_i32 s11, s4, 0x600
	v_pk_fma_f16 v4, v62, v8, v4
	v_pk_fma_f16 v70, v59, v3, v2
	v_mov_b32_e32 v2, s11
	v_pk_fma_f16 v4, v68, v9, v4
	ds_read2_b32 v[2:3], v2 offset1:1
	s_add_i32 s11, s4, 0x608
	buffer_store_dword v4, off, s[28:31], 0 offset:40 ; 4-byte Folded Spill
	v_mov_b32_e32 v4, s11
	ds_read2_b32 v[4:5], v4 offset1:1
	v_pk_fma_f16 v8, v63, v8, v70
	ds_read2_b32 v[70:71], v73 offset0:132 offset1:133
	v_pk_fma_f16 v8, v69, v9, v8
	buffer_store_dword v8, off, s[28:31], 0 offset:44 ; 4-byte Folded Spill
	s_waitcnt lgkmcnt(2)
	v_pk_fma_f16 v8, v44, v2, 0
	v_pk_fma_f16 v8, v45, v3, v8
	s_waitcnt lgkmcnt(1)
	v_pk_fma_f16 v8, v60, v4, v8
	v_pk_fma_f16 v8, v64, v5, v8
	buffer_store_dword v8, off, s[28:31], 0 offset:32 ; 4-byte Folded Spill
	v_pk_fma_f16 v8, v46, v2, 0
	v_pk_fma_f16 v8, v47, v3, v8
	;; [unrolled: 1-line block ×4, first 2 shown]
	buffer_store_dword v8, off, s[28:31], 0 offset:36 ; 4-byte Folded Spill
	v_pk_fma_f16 v8, v56, v2, 0
	v_pk_fma_f16 v2, v58, v2, 0
	;; [unrolled: 1-line block ×6, first 2 shown]
	s_waitcnt vmcnt(14)
	v_lshrrev_b32_e32 v4, 8, v40
	v_pk_fma_f16 v8, v68, v5, v8
	v_pk_fma_f16 v2, v69, v5, v2
	v_and_b32_e32 v5, 0xf000f, v4
	v_and_b32_e32 v4, 0xf000f0, v4
	buffer_store_dword v2, off, s[28:31], 0 offset:28 ; 4-byte Folded Spill
	v_and_b32_e32 v2, 0xf000f, v40
	v_or_b32_e32 v4, 0x64006400, v4
	v_or_b32_e32 v2, 0x64006400, v2
	;; [unrolled: 1-line block ×3, first 2 shown]
	v_pk_fma_f16 v45, v4, s9, v52 op_sel_hi:[1,0,1]
	v_lshrrev_b32_e32 v4, 8, v41
	v_pk_add_f16 v86, v48, v2
	v_pk_add_f16 v44, v48, v5
	v_and_b32_e32 v2, 0xf000f, v41
	v_and_b32_e32 v5, 0xf000f, v4
	;; [unrolled: 1-line block ×3, first 2 shown]
	v_or_b32_e32 v2, 0x64006400, v2
	v_or_b32_e32 v5, 0x64006400, v5
	;; [unrolled: 1-line block ×3, first 2 shown]
	v_and_b32_e32 v3, 0xf000f0, v40
	v_pk_add_f16 v98, v49, v2
	v_pk_add_f16 v102, v49, v5
	v_pk_fma_f16 v5, v4, s9, v53 op_sel_hi:[1,0,1]
	v_and_b32_e32 v2, 0xf000f, v42
	v_lshrrev_b32_e32 v4, 8, v42
	buffer_store_dword v8, off, s[28:31], 0 offset:24 ; 4-byte Folded Spill
	v_or_b32_e32 v3, 0x64006400, v3
	v_or_b32_e32 v2, 0x64006400, v2
	v_and_b32_e32 v8, 0xf000f, v4
	v_pk_fma_f16 v72, v3, s9, v52 op_sel_hi:[1,0,1]
	v_and_b32_e32 v3, 0xf000f0, v41
	v_or_b32_e32 v8, 0x64006400, v8
	v_pk_add_f16 v46, v50, v2
	v_and_b32_e32 v2, 0xf000f, v43
	v_or_b32_e32 v3, 0x64006400, v3
	v_pk_add_f16 v80, v50, v8
	v_or_b32_e32 v8, 0x64006400, v2
	v_pk_fma_f16 v101, v3, s9, v53 op_sel_hi:[1,0,1]
	v_and_b32_e32 v3, 0xf000f0, v42
	v_pk_add_f16 v97, v51, v8
	ds_read2_b32 v[8:9], v73 offset0:4 offset1:5
	v_or_b32_e32 v3, 0x64006400, v3
	v_and_b32_e32 v4, 0xf000f0, v4
	v_or_b32_e32 v4, 0x64006400, v4
	v_pk_fma_f16 v59, v3, s9, v54 op_sel_hi:[1,0,1]
	v_and_b32_e32 v2, 0xf000f0, v43
	v_lshrrev_b32_e32 v3, 8, v43
	ds_read2_b32 v[42:43], v73 offset0:6 offset1:7
	ds_read2_b32 v[40:41], v73 offset0:70 offset1:71
	v_pk_fma_f16 v82, v4, s9, v54 op_sel_hi:[1,0,1]
	v_or_b32_e32 v4, 0x64006400, v2
	v_and_b32_e32 v2, 0xf000f, v3
	v_or_b32_e32 v2, 0x64006400, v2
	v_pk_add_f16 v104, v51, v2
	s_waitcnt lgkmcnt(2)
	v_pk_fma_f16 v2, v86, v8, 0
	v_pk_fma_f16 v2, v72, v9, v2
	s_waitcnt lgkmcnt(1)
	v_pk_fma_f16 v2, v44, v42, v2
	v_pk_fma_f16 v108, v45, v43, v2
	;; [unrolled: 1-line block ×7, first 2 shown]
	v_and_b32_e32 v3, 0xf000f0, v3
	v_pk_fma_f16 v2, v59, v9, v2
	v_or_b32_e32 v3, 0x64006400, v3
	v_pk_fma_f16 v2, v80, v42, v2
	v_pk_fma_f16 v103, v4, s9, v55 op_sel_hi:[1,0,1]
	v_pk_fma_f16 v110, v3, s9, v55 op_sel_hi:[1,0,1]
	v_pk_fma_f16 v4, v82, v43, v2
	ds_read2_b32 v[2:3], v73 offset0:68 offset1:69
	v_pk_fma_f16 v8, v97, v8, 0
	v_pk_fma_f16 v8, v103, v9, v8
	;; [unrolled: 1-line block ×4, first 2 shown]
	ds_read2_b32 v[42:43], v73 offset0:196 offset1:197
	s_waitcnt lgkmcnt(1)
	v_pk_fma_f16 v9, v98, v2, 0
	v_pk_fma_f16 v9, v101, v3, v9
	;; [unrolled: 1-line block ×12, first 2 shown]
	ds_read2_b32 v[2:3], v73 offset0:134 offset1:135
	v_pk_fma_f16 v9, v104, v40, v9
	v_pk_fma_f16 v56, v110, v41, v9
	;; [unrolled: 1-line block ×6, first 2 shown]
	ds_read2_b32 v[40:41], v73 offset0:198 offset1:199
	s_waitcnt lgkmcnt(1)
	v_pk_fma_f16 v9, v44, v2, v9
	v_pk_fma_f16 v58, v45, v3, v9
	;; [unrolled: 1-line block ×16, first 2 shown]
	s_waitcnt lgkmcnt(0)
	v_pk_fma_f16 v2, v44, v40, v2
	v_pk_fma_f16 v63, v45, v41, v2
	;; [unrolled: 1-line block ×11, first 2 shown]
	s_add_i32 s11, s4, 0x410
	v_pk_fma_f16 v9, v103, v43, v2
	v_mov_b32_e32 v2, s11
	ds_read2_b32 v[2:3], v2 offset1:1
	s_add_i32 s11, s4, 0x418
	v_mov_b32_e32 v42, s11
	ds_read2_b32 v[42:43], v42 offset1:1
	v_pk_fma_f16 v9, v104, v40, v9
	v_pk_fma_f16 v85, v110, v41, v9
	s_waitcnt lgkmcnt(1)
	v_pk_fma_f16 v9, v86, v2, 0
	v_pk_fma_f16 v9, v72, v3, v9
	s_waitcnt lgkmcnt(0)
	v_pk_fma_f16 v9, v44, v42, v9
	v_pk_fma_f16 v71, v45, v43, v9
	;; [unrolled: 1-line block ×9, first 2 shown]
	s_add_i32 s11, s4, 0x510
	v_pk_fma_f16 v81, v82, v43, v9
	v_mov_b32_e32 v9, s11
	ds_read2_b32 v[40:41], v9 offset1:1
	v_pk_fma_f16 v2, v97, v2, 0
	v_pk_fma_f16 v2, v103, v3, v2
	;; [unrolled: 1-line block ×4, first 2 shown]
	s_waitcnt lgkmcnt(0)
	v_pk_fma_f16 v3, v98, v40, 0
	v_pk_fma_f16 v2, v86, v40, 0
	s_add_i32 s11, s4, 0x518
	v_pk_fma_f16 v42, v101, v41, v3
	v_pk_fma_f16 v3, v46, v40, 0
	;; [unrolled: 1-line block ×3, first 2 shown]
	v_mov_b32_e32 v2, s11
	v_pk_fma_f16 v43, v59, v41, v3
	v_pk_fma_f16 v3, v97, v40, 0
	;; [unrolled: 1-line block ×3, first 2 shown]
	ds_read2_b32 v[2:3], v2 offset1:1
	s_add_i32 s11, s4, 0x610
	s_waitcnt lgkmcnt(0)
	v_pk_fma_f16 v9, v44, v2, v9
	v_pk_fma_f16 v9, v45, v3, v9
	buffer_store_dword v9, off, s[28:31], 0 offset:96 ; 4-byte Folded Spill
	v_pk_fma_f16 v9, v102, v2, v42
	v_pk_fma_f16 v41, v80, v2, v43
	;; [unrolled: 1-line block ×5, first 2 shown]
	buffer_store_dword v2, off, s[28:31], 0 offset:92 ; 4-byte Folded Spill
	v_mov_b32_e32 v2, s11
	buffer_store_dword v9, off, s[28:31], 0 offset:100 ; 4-byte Folded Spill
	v_pk_fma_f16 v9, v82, v3, v41
	ds_read2_b32 v[40:41], v2 offset1:1
	s_add_i32 s11, s4, 0x618
	v_mov_b32_e32 v3, s11
	ds_read2_b32 v[42:43], v3 offset1:1
	s_add_i32 s11, s4, 0x420
	s_waitcnt lgkmcnt(1)
	v_pk_fma_f16 v2, v86, v40, 0
	v_pk_fma_f16 v2, v72, v41, v2
	buffer_store_dword v9, off, s[28:31], 0 offset:88 ; 4-byte Folded Spill
	s_waitcnt lgkmcnt(0)
	v_pk_fma_f16 v2, v44, v42, v2
	v_pk_fma_f16 v72, v45, v43, v2
	;; [unrolled: 1-line block ×3, first 2 shown]
	v_add_co_u32_e32 v44, vcc, s2, v0
	v_pk_fma_f16 v2, v101, v41, v2
	v_addc_co_u32_e32 v45, vcc, v1, v107, vcc
	v_pk_fma_f16 v64, v102, v42, v2
	global_load_dwordx4 v[0:3], v[44:45], off
	v_pk_fma_f16 v86, v5, v43, v64
	v_pk_fma_f16 v5, v46, v40, 0
	;; [unrolled: 1-line block ×9, first 2 shown]
	s_waitcnt vmcnt(0)
	v_and_b32_e32 v5, 0xf000f, v0
	v_and_b32_e32 v40, 0xf000f0, v0
	v_lshrrev_b32_e32 v41, 8, v0
	v_and_b32_e32 v0, 0xf000f, v1
	v_or_b32_e32 v0, 0x64006400, v0
	v_and_b32_e32 v42, 0xf000f0, v1
	v_lshrrev_b32_e32 v43, 8, v1
	v_pk_add_f16 v46, v49, v0
	v_and_b32_e32 v0, 0xf000f, v2
	v_and_b32_e32 v1, 0xf000f0, v2
	v_or_b32_e32 v0, 0x64006400, v0
	v_or_b32_e32 v1, 0x64006400, v1
	v_pk_add_f16 v59, v50, v0
	v_pk_fma_f16 v64, v1, s9, v54 op_sel_hi:[1,0,1]
	ds_read2_b32 v[0:1], v73 offset0:8 offset1:9
	v_and_b32_e32 v65, 0xf000f, v3
	v_or_b32_e32 v5, 0x64006400, v5
	v_and_b32_e32 v66, 0xf000f0, v3
	v_or_b32_e32 v65, 0x64006400, v65
	v_or_b32_e32 v40, 0x64006400, v40
	v_pk_add_f16 v5, v48, v5
	v_or_b32_e32 v42, 0x64006400, v42
	v_or_b32_e32 v66, 0x64006400, v66
	v_pk_add_f16 v65, v51, v65
	v_pk_fma_f16 v40, v40, s9, v52 op_sel_hi:[1,0,1]
	v_pk_fma_f16 v42, v42, s9, v53 op_sel_hi:[1,0,1]
	;; [unrolled: 1-line block ×3, first 2 shown]
	s_waitcnt lgkmcnt(0)
	v_pk_fma_f16 v68, v5, v0, 0
	v_pk_fma_f16 v70, v46, v0, 0
	;; [unrolled: 1-line block ×8, first 2 shown]
	ds_read2_b32 v[0:1], v73 offset0:72 offset1:73
	v_lshrrev_b32_e32 v2, 8, v2
	v_lshrrev_b32_e32 v3, 8, v3
	s_waitcnt lgkmcnt(0)
	v_pk_fma_f16 v78, v5, v0, 0
	v_pk_fma_f16 v79, v46, v0, 0
	;; [unrolled: 1-line block ×8, first 2 shown]
	ds_read2_b32 v[0:1], v73 offset0:136 offset1:137
	s_waitcnt lgkmcnt(0)
	v_pk_fma_f16 v101, v5, v0, 0
	v_pk_fma_f16 v102, v46, v0, 0
	;; [unrolled: 1-line block ×8, first 2 shown]
	ds_read2_b32 v[0:1], v73 offset0:200 offset1:201
	s_waitcnt lgkmcnt(0)
	v_pk_fma_f16 v110, v5, v0, 0
	v_pk_fma_f16 v111, v46, v0, 0
	v_pk_fma_f16 v112, v59, v0, 0
	v_pk_fma_f16 v0, v65, v0, 0
	v_pk_fma_f16 v114, v66, v1, v0
	v_mov_b32_e32 v0, s11
	v_pk_fma_f16 v110, v40, v1, v110
	v_pk_fma_f16 v111, v42, v1, v111
	v_pk_fma_f16 v112, v64, v1, v112
	ds_read2_b32 v[0:1], v0 offset1:1
	s_add_i32 s11, s4, 0x520
	s_waitcnt lgkmcnt(0)
	v_pk_fma_f16 v115, v5, v0, 0
	v_pk_fma_f16 v116, v46, v0, 0
	v_pk_fma_f16 v117, v59, v0, 0
	v_pk_fma_f16 v0, v65, v0, 0
	v_pk_fma_f16 v118, v66, v1, v0
	v_mov_b32_e32 v0, s11
	v_pk_fma_f16 v115, v40, v1, v115
	v_pk_fma_f16 v116, v42, v1, v116
	v_pk_fma_f16 v117, v64, v1, v117
	ds_read2_b32 v[0:1], v0 offset1:1
	s_add_i32 s11, s4, 0x620
	;; [unrolled: 12-line block ×3, first 2 shown]
	s_waitcnt lgkmcnt(0)
	v_pk_fma_f16 v5, v5, v0, 0
	v_pk_fma_f16 v84, v40, v1, v5
	;; [unrolled: 1-line block ×8, first 2 shown]
	v_and_b32_e32 v0, 0xf000f, v41
	v_and_b32_e32 v1, 0xf000f0, v41
	v_or_b32_e32 v0, 0x64006400, v0
	v_or_b32_e32 v1, 0x64006400, v1
	v_pk_add_f16 v92, v48, v0
	v_pk_fma_f16 v94, v1, s9, v52 op_sel_hi:[1,0,1]
	v_and_b32_e32 v0, 0xf000f, v43
	v_and_b32_e32 v1, 0xf000f0, v43
	v_or_b32_e32 v0, 0x64006400, v0
	v_or_b32_e32 v1, 0x64006400, v1
	v_pk_add_f16 v122, v49, v0
	v_pk_fma_f16 v124, v1, s9, v53 op_sel_hi:[1,0,1]
	;; [unrolled: 6-line block ×4, first 2 shown]
	ds_read2_b32 v[0:1], v73 offset0:10 offset1:11
	s_waitcnt lgkmcnt(0)
	v_pk_fma_f16 v2, v92, v0, v68
	v_pk_fma_f16 v12, v94, v1, v2
	v_pk_fma_f16 v2, v122, v0, v70
	v_pk_fma_f16 v13, v124, v1, v2
	v_pk_fma_f16 v2, v126, v0, v74
	v_pk_fma_f16 v0, v10, v0, v75
	v_pk_fma_f16 v68, v127, v1, v2
	v_pk_fma_f16 v70, v11, v1, v0
	ds_read2_b32 v[0:1], v73 offset0:74 offset1:75
	s_waitcnt lgkmcnt(0)
	v_pk_fma_f16 v2, v92, v0, v78
	v_pk_fma_f16 v64, v94, v1, v2
	v_pk_fma_f16 v2, v122, v0, v79
	v_pk_fma_f16 v66, v124, v1, v2
	v_pk_fma_f16 v2, v126, v0, v97
	v_pk_fma_f16 v0, v10, v0, v98
	v_pk_fma_f16 v42, v127, v1, v2
	v_pk_fma_f16 v43, v11, v1, v0
	;; [unrolled: 10-line block ×3, first 2 shown]
	ds_read2_b32 v[0:1], v73 offset0:202 offset1:203
	s_waitcnt lgkmcnt(0)
	v_pk_fma_f16 v5, v92, v0, v110
	v_pk_fma_f16 v46, v94, v1, v5
	;; [unrolled: 1-line block ×6, first 2 shown]
	v_mov_b32_e32 v0, s11
	v_pk_fma_f16 v5, v124, v1, v5
	v_pk_fma_f16 v98, v127, v1, v9
	ds_read2_b32 v[0:1], v0 offset1:1
	s_add_i32 s11, s4, 0x528
	s_waitcnt lgkmcnt(0)
	v_pk_fma_f16 v9, v92, v0, v115
	v_pk_fma_f16 v97, v94, v1, v9
	;; [unrolled: 1-line block ×7, first 2 shown]
	v_mov_b32_e32 v0, s11
	v_pk_fma_f16 v9, v127, v1, v9
	ds_read2_b32 v[0:1], v0 offset1:1
	s_add_i32 s11, s4, 0x628
	s_waitcnt lgkmcnt(0)
	v_pk_fma_f16 v74, v92, v0, v119
	v_pk_fma_f16 v111, v94, v1, v74
	;; [unrolled: 1-line block ×7, first 2 shown]
	v_mov_b32_e32 v0, s11
	v_pk_fma_f16 v103, v127, v1, v74
	ds_read2_b32 v[0:1], v0 offset1:1
	s_add_i32 s11, s4, 0x430
	s_waitcnt lgkmcnt(0)
	v_pk_fma_f16 v74, v92, v0, v84
	v_pk_fma_f16 v101, v94, v1, v74
	;; [unrolled: 1-line block ×7, first 2 shown]
	v_add_co_u32_e32 v0, vcc, s2, v44
	v_pk_fma_f16 v76, v127, v1, v74
	v_addc_co_u32_e32 v1, vcc, v45, v107, vcc
	global_load_dwordx4 v[118:121], v[0:1], off
	v_cvt_f32_f16_e32 v1, v106
	v_cvt_f32_f16_e32 v0, v105
	v_cvt_f32_f16_sdwa v45, v106 dst_sel:DWORD dst_unused:UNUSED_PAD src0_sel:WORD_1
	v_cvt_f32_f16_sdwa v44, v105 dst_sel:DWORD dst_unused:UNUSED_PAD src0_sel:WORD_1
	v_add_co_u32_e32 v16, vcc, s0, v16
	v_pk_add_f32 v[0:1], v[0:1], v[44:45]
	v_pk_fma_f32 v[0:1], v[0:1], v[20:21], v[36:37]
	v_cvt_f32_f16_e32 v37, v109
	v_cvt_f32_f16_e32 v36, v108
	v_cvt_f32_f16_sdwa v45, v109 dst_sel:DWORD dst_unused:UNUSED_PAD src0_sel:WORD_1
	v_cvt_f32_f16_sdwa v44, v108 dst_sel:DWORD dst_unused:UNUSED_PAD src0_sel:WORD_1
	v_pk_add_f32 v[36:37], v[36:37], v[44:45]
	v_pk_fma_f32 v[0:1], v[36:37], v[20:21], v[0:1]
	v_cvt_f32_f16_e32 v37, v13
	v_cvt_f32_f16_e32 v36, v12
	v_cvt_f32_f16_sdwa v45, v13 dst_sel:DWORD dst_unused:UNUSED_PAD src0_sel:WORD_1
	v_cvt_f32_f16_sdwa v44, v12 dst_sel:DWORD dst_unused:UNUSED_PAD src0_sel:WORD_1
	v_pk_add_f32 v[36:37], v[36:37], v[44:45]
	v_pk_fma_f32 v[0:1], v[36:37], v[20:21], v[0:1]
	s_waitcnt vmcnt(0)
	v_and_b32_e32 v10, 0xf000f, v118
	v_and_b32_e32 v11, 0xf000f0, v118
	v_lshrrev_b32_e32 v65, 8, v118
	v_and_b32_e32 v74, 0xf000f, v119
	v_and_b32_e32 v75, 0xf000f0, v119
	v_lshrrev_b32_e32 v78, 8, v119
	;; [unrolled: 3-line block ×4, first 2 shown]
	ds_read2_b32 v[120:121], v73 offset0:12 offset1:13
	v_or_b32_e32 v10, 0x64006400, v10
	v_or_b32_e32 v11, 0x64006400, v11
	v_and_b32_e32 v12, 0xf000f, v65
	v_pk_add_f16 v45, v48, v10
	v_pk_fma_f16 v105, v11, s9, v52 op_sel_hi:[1,0,1]
	v_or_b32_e32 v10, 0x64006400, v74
	v_or_b32_e32 v11, 0x64006400, v75
	ds_read2_b32 v[74:75], v73 offset0:14 offset1:15
	v_or_b32_e32 v12, 0x64006400, v12
	v_and_b32_e32 v13, 0xf000f0, v65
	v_or_b32_e32 v13, 0x64006400, v13
	v_pk_add_f16 v106, v48, v12
	v_and_b32_e32 v12, 0xf000f, v78
	v_pk_add_f16 v108, v49, v10
	v_pk_fma_f16 v107, v13, s9, v52 op_sel_hi:[1,0,1]
	v_or_b32_e32 v12, 0x64006400, v12
	v_and_b32_e32 v13, 0xf000f0, v78
	v_pk_fma_f16 v109, v11, s9, v53 op_sel_hi:[1,0,1]
	s_waitcnt lgkmcnt(1)
	v_pk_fma_f16 v10, v45, v120, 0
	v_pk_fma_f16 v11, v108, v120, 0
	v_or_b32_e32 v13, 0x64006400, v13
	v_pk_add_f16 v110, v49, v12
	v_pk_fma_f16 v10, v105, v121, v10
	v_pk_fma_f16 v11, v109, v121, v11
	v_pk_fma_f16 v44, v13, s9, v53 op_sel_hi:[1,0,1]
	s_waitcnt lgkmcnt(0)
	v_pk_fma_f16 v10, v106, v74, v10
	v_pk_fma_f16 v11, v110, v74, v11
	;; [unrolled: 1-line block ×4, first 2 shown]
	v_cvt_f32_f16_e32 v37, v11
	v_cvt_f32_f16_e32 v36, v10
	v_cvt_f32_f16_sdwa v79, v11 dst_sel:DWORD dst_unused:UNUSED_PAD src0_sel:WORD_1
	v_cvt_f32_f16_sdwa v78, v10 dst_sel:DWORD dst_unused:UNUSED_PAD src0_sel:WORD_1
	v_and_b32_e32 v10, 0xf000f, v119
	v_or_b32_e32 v10, 0x64006400, v10
	v_and_b32_e32 v11, 0xf000f0, v119
	v_pk_add_f32 v[36:37], v[36:37], v[78:79]
	v_pk_fma_f32 v[36:37], v[36:37], v[20:21], v[0:1]
	v_or_b32_e32 v0, 0x64006400, v115
	v_or_b32_e32 v1, 0x64006400, v116
	v_pk_add_f16 v115, v50, v0
	v_or_b32_e32 v0, 0x64006400, v117
	v_pk_fma_f16 v116, v1, s9, v54 op_sel_hi:[1,0,1]
	v_or_b32_e32 v1, 0x64006400, v118
	v_pk_add_f16 v117, v51, v0
	v_pk_fma_f16 v0, v115, v120, 0
	v_or_b32_e32 v11, 0x64006400, v11
	v_pk_add_f16 v119, v50, v10
	v_and_b32_e32 v10, 0xf000f, v114
	v_pk_fma_f16 v118, v1, s9, v55 op_sel_hi:[1,0,1]
	v_pk_fma_f16 v0, v116, v121, v0
	v_pk_fma_f16 v1, v117, v120, 0
	v_pk_fma_f16 v120, v11, s9, v54 op_sel_hi:[1,0,1]
	v_or_b32_e32 v10, 0x64006400, v10
	v_and_b32_e32 v11, 0xf000f0, v114
	v_pk_fma_f16 v1, v118, v121, v1
	v_or_b32_e32 v11, 0x64006400, v11
	v_pk_add_f16 v121, v51, v10
	v_pk_fma_f16 v0, v119, v74, v0
	v_pk_fma_f16 v114, v11, s9, v55 op_sel_hi:[1,0,1]
	v_pk_fma_f16 v10, v120, v75, v0
	v_pk_fma_f16 v0, v121, v74, v1
	;; [unrolled: 1-line block ×3, first 2 shown]
	v_cvt_f32_f16_e32 v1, v100
	v_cvt_f32_f16_e32 v0, v99
	v_cvt_f32_f16_sdwa v75, v100 dst_sel:DWORD dst_unused:UNUSED_PAD src0_sel:WORD_1
	v_cvt_f32_f16_sdwa v74, v99 dst_sel:DWORD dst_unused:UNUSED_PAD src0_sel:WORD_1
	ds_read2_b32 v[78:79], v73 offset0:78 offset1:79
	v_pk_add_f32 v[0:1], v[0:1], v[74:75]
	v_pk_fma_f32 v[0:1], v[0:1], v[22:23], v[28:29]
	v_cvt_f32_f16_e32 v29, v62
	v_cvt_f32_f16_e32 v28, v4
	v_cvt_f32_f16_sdwa v75, v62 dst_sel:DWORD dst_unused:UNUSED_PAD src0_sel:WORD_1
	v_cvt_f32_f16_sdwa v74, v4 dst_sel:DWORD dst_unused:UNUSED_PAD src0_sel:WORD_1
	v_pk_add_f32 v[28:29], v[28:29], v[74:75]
	v_pk_fma_f32 v[0:1], v[28:29], v[22:23], v[0:1]
	v_cvt_f32_f16_e32 v29, v70
	v_cvt_f32_f16_e32 v28, v68
	v_cvt_f32_f16_sdwa v75, v70 dst_sel:DWORD dst_unused:UNUSED_PAD src0_sel:WORD_1
	v_cvt_f32_f16_sdwa v74, v68 dst_sel:DWORD dst_unused:UNUSED_PAD src0_sel:WORD_1
	v_pk_add_f32 v[28:29], v[28:29], v[74:75]
	v_pk_fma_f32 v[0:1], v[28:29], v[22:23], v[0:1]
	v_cvt_f32_f16_e32 v29, v11
	v_cvt_f32_f16_e32 v28, v10
	v_cvt_f32_f16_sdwa v75, v11 dst_sel:DWORD dst_unused:UNUSED_PAD src0_sel:WORD_1
	v_cvt_f32_f16_sdwa v74, v10 dst_sel:DWORD dst_unused:UNUSED_PAD src0_sel:WORD_1
	buffer_load_dword v11, off, s[28:31], 0 offset:84 ; 4-byte Folded Reload
	buffer_load_dword v10, off, s[28:31], 0 offset:80 ; 4-byte Folded Reload
	v_pk_add_f32 v[28:29], v[28:29], v[74:75]
	v_pk_fma_f32 v[28:29], v[28:29], v[22:23], v[0:1]
	v_cvt_f32_f16_e32 v1, v96
	v_cvt_f32_f16_e32 v0, v61
	v_cvt_f32_f16_sdwa v75, v96 dst_sel:DWORD dst_unused:UNUSED_PAD src0_sel:WORD_1
	v_cvt_f32_f16_sdwa v74, v61 dst_sel:DWORD dst_unused:UNUSED_PAD src0_sel:WORD_1
	;; [unrolled: 1-line block ×3, first 2 shown]
	v_pk_add_f32 v[0:1], v[0:1], v[74:75]
	v_pk_fma_f32 v[0:1], v[0:1], v[20:21], v[34:35]
	v_cvt_f32_f16_e32 v35, v60
	v_cvt_f32_f16_e32 v34, v8
	v_cvt_f32_f16_sdwa v75, v60 dst_sel:DWORD dst_unused:UNUSED_PAD src0_sel:WORD_1
	v_cvt_f32_f16_sdwa v74, v8 dst_sel:DWORD dst_unused:UNUSED_PAD src0_sel:WORD_1
	;; [unrolled: 1-line block ×3, first 2 shown]
	v_pk_add_f32 v[34:35], v[34:35], v[74:75]
	v_pk_fma_f32 v[0:1], v[34:35], v[20:21], v[0:1]
	v_cvt_f32_f16_e32 v35, v66
	v_cvt_f32_f16_e32 v34, v64
	v_cvt_f32_f16_sdwa v75, v66 dst_sel:DWORD dst_unused:UNUSED_PAD src0_sel:WORD_1
	v_cvt_f32_f16_sdwa v74, v64 dst_sel:DWORD dst_unused:UNUSED_PAD src0_sel:WORD_1
	v_pk_add_f32 v[34:35], v[34:35], v[74:75]
	ds_read2_b32 v[74:75], v73 offset0:76 offset1:77
	v_pk_fma_f32 v[0:1], v[34:35], v[20:21], v[0:1]
	s_waitcnt lgkmcnt(0)
	v_pk_fma_f16 v4, v45, v74, 0
	v_pk_fma_f16 v8, v108, v74, 0
	;; [unrolled: 1-line block ×8, first 2 shown]
	v_cvt_f32_f16_e32 v35, v8
	v_cvt_f32_f16_e32 v34, v4
	v_cvt_f32_f16_sdwa v65, v8 dst_sel:DWORD dst_unused:UNUSED_PAD src0_sel:WORD_1
	v_cvt_f32_f16_sdwa v64, v4 dst_sel:DWORD dst_unused:UNUSED_PAD src0_sel:WORD_1
	v_pk_add_f32 v[34:35], v[34:35], v[64:65]
	v_pk_fma_f32 v[34:35], v[34:35], v[20:21], v[0:1]
	v_pk_fma_f16 v0, v115, v74, 0
	v_pk_fma_f16 v0, v116, v75, v0
	;; [unrolled: 1-line block ×8, first 2 shown]
	v_cvt_f32_f16_e32 v1, v93
	v_cvt_f32_f16_e32 v0, v67
	v_cvt_f32_f16_sdwa v65, v93 dst_sel:DWORD dst_unused:UNUSED_PAD src0_sel:WORD_1
	v_cvt_f32_f16_sdwa v64, v67 dst_sel:DWORD dst_unused:UNUSED_PAD src0_sel:WORD_1
	v_pk_add_f32 v[0:1], v[0:1], v[64:65]
	v_pk_fma_f32 v[0:1], v[0:1], v[22:23], v[26:27]
	v_cvt_f32_f16_e32 v27, v56
	v_cvt_f32_f16_e32 v26, v95
	v_cvt_f32_f16_sdwa v65, v56 dst_sel:DWORD dst_unused:UNUSED_PAD src0_sel:WORD_1
	v_cvt_f32_f16_sdwa v64, v95 dst_sel:DWORD dst_unused:UNUSED_PAD src0_sel:WORD_1
	v_pk_add_f32 v[26:27], v[26:27], v[64:65]
	v_pk_fma_f32 v[0:1], v[26:27], v[22:23], v[0:1]
	;; [unrolled: 6-line block ×6, first 2 shown]
	v_cvt_f32_f16_e32 v33, v3
	v_cvt_f32_f16_e32 v32, v2
	v_cvt_f32_f16_sdwa v3, v3 dst_sel:DWORD dst_unused:UNUSED_PAD src0_sel:WORD_1
	v_cvt_f32_f16_sdwa v2, v2 dst_sel:DWORD dst_unused:UNUSED_PAD src0_sel:WORD_1
	ds_read2_b32 v[42:43], v73 offset0:140 offset1:141
	v_pk_add_f32 v[2:3], v[32:33], v[2:3]
	v_pk_fma_f32 v[0:1], v[2:3], v[20:21], v[0:1]
	s_waitcnt lgkmcnt(0)
	v_pk_fma_f16 v2, v45, v42, 0
	v_pk_fma_f16 v4, v105, v43, v2
	ds_read2_b32 v[2:3], v73 offset0:142 offset1:143
	v_pk_fma_f16 v8, v108, v42, 0
	v_pk_fma_f16 v8, v109, v43, v8
	s_waitcnt lgkmcnt(0)
	v_pk_fma_f16 v4, v106, v2, v4
	v_pk_fma_f16 v8, v110, v2, v8
	;; [unrolled: 1-line block ×4, first 2 shown]
	v_cvt_f32_f16_e32 v33, v8
	v_cvt_f32_f16_e32 v32, v4
	v_cvt_f32_f16_sdwa v57, v8 dst_sel:DWORD dst_unused:UNUSED_PAD src0_sel:WORD_1
	v_cvt_f32_f16_sdwa v56, v4 dst_sel:DWORD dst_unused:UNUSED_PAD src0_sel:WORD_1
	v_pk_add_f32 v[32:33], v[32:33], v[56:57]
	v_pk_fma_f32 v[32:33], v[32:33], v[20:21], v[0:1]
	v_pk_fma_f16 v0, v115, v42, 0
	v_pk_fma_f16 v0, v116, v43, v0
	v_pk_fma_f16 v1, v117, v42, 0
	v_pk_fma_f16 v1, v118, v43, v1
	v_pk_fma_f16 v0, v119, v2, v0
	v_pk_fma_f16 v4, v120, v3, v0
	v_pk_fma_f16 v0, v121, v2, v1
	v_pk_fma_f16 v8, v114, v3, v0
	buffer_load_dword v3, off, s[28:31], 0 offset:108 ; 4-byte Folded Reload
	buffer_load_dword v2, off, s[28:31], 0 offset:104 ; 4-byte Folded Reload
	v_cvt_f32_f16_e32 v43, v41
	v_cvt_f32_f16_e32 v42, v40
	v_cvt_f32_f16_sdwa v41, v41 dst_sel:DWORD dst_unused:UNUSED_PAD src0_sel:WORD_1
	v_cvt_f32_f16_sdwa v40, v40 dst_sel:DWORD dst_unused:UNUSED_PAD src0_sel:WORD_1
	v_cvt_f32_f16_e32 v57, v89
	v_cvt_f32_f16_e32 v56, v63
	v_pk_add_f32 v[42:43], v[42:43], v[40:41]
	v_cvt_f32_f16_sdwa v41, v8 dst_sel:DWORD dst_unused:UNUSED_PAD src0_sel:WORD_1
	v_cvt_f32_f16_sdwa v40, v4 dst_sel:DWORD dst_unused:UNUSED_PAD src0_sel:WORD_1
	s_waitcnt vmcnt(1)
	v_cvt_f32_f16_e32 v1, v3
	s_waitcnt vmcnt(0)
	v_cvt_f32_f16_e32 v0, v2
	v_cvt_f32_f16_sdwa v3, v3 dst_sel:DWORD dst_unused:UNUSED_PAD src0_sel:WORD_1
	v_cvt_f32_f16_sdwa v2, v2 dst_sel:DWORD dst_unused:UNUSED_PAD src0_sel:WORD_1
	v_pk_add_f32 v[0:1], v[0:1], v[2:3]
	v_pk_fma_f32 v[0:1], v[0:1], v[22:23], v[38:39]
	v_cvt_f32_f16_e32 v3, v47
	v_cvt_f32_f16_e32 v2, v113
	v_cvt_f32_f16_sdwa v39, v47 dst_sel:DWORD dst_unused:UNUSED_PAD src0_sel:WORD_1
	v_cvt_f32_f16_sdwa v38, v113 dst_sel:DWORD dst_unused:UNUSED_PAD src0_sel:WORD_1
	;; [unrolled: 1-line block ×3, first 2 shown]
	v_pk_add_f32 v[2:3], v[2:3], v[38:39]
	v_cvt_f32_f16_e32 v39, v8
	v_cvt_f32_f16_e32 v38, v4
	v_pk_fma_f32 v[2:3], v[2:3], v[22:23], v[0:1]
	v_pk_fma_f32 v[42:43], v[42:43], v[22:23], v[2:3]
	ds_read2_b32 v[0:1], v73 offset0:204 offset1:205
	ds_read2_b32 v[2:3], v73 offset0:206 offset1:207
	v_pk_add_f32 v[38:39], v[38:39], v[40:41]
	v_pk_fma_f32 v[38:39], v[38:39], v[22:23], v[42:43]
	v_cvt_f32_f16_e32 v41, v11
	v_cvt_f32_f16_sdwa v43, v11 dst_sel:DWORD dst_unused:UNUSED_PAD src0_sel:WORD_1
	buffer_load_dword v11, off, s[28:31], 0 offset:76 ; 4-byte Folded Reload
	v_cvt_f32_f16_e32 v40, v10
	v_cvt_f32_f16_sdwa v42, v10 dst_sel:DWORD dst_unused:UNUSED_PAD src0_sel:WORD_1
	buffer_load_dword v10, off, s[28:31], 0 offset:72 ; 4-byte Folded Reload
	s_waitcnt lgkmcnt(1)
	v_pk_fma_f16 v4, v45, v0, 0
	v_pk_fma_f16 v8, v108, v0, 0
	;; [unrolled: 1-line block ×4, first 2 shown]
	s_waitcnt lgkmcnt(0)
	v_pk_fma_f16 v4, v106, v2, v4
	v_pk_fma_f16 v8, v110, v2, v8
	;; [unrolled: 1-line block ×4, first 2 shown]
	v_pk_add_f32 v[40:41], v[40:41], v[42:43]
	v_cvt_f32_f16_e32 v43, v5
	v_cvt_f32_f16_e32 v42, v46
	v_cvt_f32_f16_sdwa v46, v46 dst_sel:DWORD dst_unused:UNUSED_PAD src0_sel:WORD_1
	v_pk_fma_f32 v[24:25], v[40:41], v[20:21], v[24:25]
	v_pk_add_f32 v[40:41], v[56:57], v[60:61]
	v_cvt_f32_f16_e32 v57, v8
	v_cvt_f32_f16_e32 v56, v4
	v_cvt_f32_f16_sdwa v5, v8 dst_sel:DWORD dst_unused:UNUSED_PAD src0_sel:WORD_1
	v_cvt_f32_f16_sdwa v4, v4 dst_sel:DWORD dst_unused:UNUSED_PAD src0_sel:WORD_1
	v_pk_fma_f32 v[24:25], v[40:41], v[20:21], v[24:25]
	v_pk_add_f32 v[40:41], v[42:43], v[46:47]
	v_pk_fma_f32 v[24:25], v[40:41], v[20:21], v[24:25]
	v_pk_add_f32 v[4:5], v[56:57], v[4:5]
	v_pk_fma_f32 v[24:25], v[4:5], v[20:21], v[24:25]
	v_pk_fma_f16 v4, v115, v0, 0
	v_pk_fma_f16 v4, v116, v1, v4
	;; [unrolled: 1-line block ×7, first 2 shown]
	v_cvt_f32_f16_e32 v2, v87
	v_cvt_f32_f16_sdwa v43, v59 dst_sel:DWORD dst_unused:UNUSED_PAD src0_sel:WORD_1
	v_cvt_f32_f16_sdwa v42, v98 dst_sel:DWORD dst_unused:UNUSED_PAD src0_sel:WORD_1
	;; [unrolled: 1-line block ×4, first 2 shown]
	s_waitcnt vmcnt(1)
	v_cvt_f32_f16_e32 v5, v11
	v_cvt_f32_f16_sdwa v41, v11 dst_sel:DWORD dst_unused:UNUSED_PAD src0_sel:WORD_1
	v_cvt_f32_f16_sdwa v11, v125 dst_sel:DWORD dst_unused:UNUSED_PAD src0_sel:WORD_1
	s_waitcnt vmcnt(0)
	v_cvt_f32_f16_e32 v4, v10
	v_cvt_f32_f16_sdwa v40, v10 dst_sel:DWORD dst_unused:UNUSED_PAD src0_sel:WORD_1
	v_pk_fma_f16 v10, v114, v3, v0
	v_cvt_f32_f16_e32 v3, v85
	v_pk_add_f32 v[0:1], v[4:5], v[40:41]
	v_cvt_f32_f16_sdwa v5, v85 dst_sel:DWORD dst_unused:UNUSED_PAD src0_sel:WORD_1
	v_cvt_f32_f16_sdwa v4, v87 dst_sel:DWORD dst_unused:UNUSED_PAD src0_sel:WORD_1
	v_cvt_f32_f16_e32 v41, v59
	v_cvt_f32_f16_e32 v40, v98
	v_pk_fma_f32 v[0:1], v[0:1], v[22:23], v[18:19]
	v_pk_add_f32 v[2:3], v[2:3], v[4:5]
	v_pk_fma_f32 v[0:1], v[2:3], v[22:23], v[0:1]
	v_pk_add_f32 v[2:3], v[40:41], v[42:43]
	v_pk_fma_f32 v[0:1], v[2:3], v[22:23], v[0:1]
	v_cvt_f32_f16_e32 v3, v10
	v_cvt_f32_f16_e32 v2, v8
	v_cvt_f32_f16_sdwa v5, v10 dst_sel:DWORD dst_unused:UNUSED_PAD src0_sel:WORD_1
	v_cvt_f32_f16_sdwa v4, v8 dst_sel:DWORD dst_unused:UNUSED_PAD src0_sel:WORD_1
	v_mov_b32_e32 v8, s11
	ds_read2_b32 v[40:41], v8 offset1:1
	s_add_i32 s11, s4, 0x438
	v_pk_add_f32 v[2:3], v[2:3], v[4:5]
	v_pk_fma_f32 v[18:19], v[2:3], v[22:23], v[0:1]
	buffer_load_dword v3, off, s[28:31], 0 offset:68 ; 4-byte Folded Reload
	buffer_load_dword v2, off, s[28:31], 0 offset:64 ; 4-byte Folded Reload
	v_mov_b32_e32 v8, s11
	ds_read2_b32 v[42:43], v8 offset1:1
	s_waitcnt lgkmcnt(1)
	v_pk_fma_f16 v0, v45, v40, 0
	v_pk_fma_f16 v0, v105, v41, v0
	v_cvt_f32_f16_e32 v5, v69
	v_cvt_f32_f16_e32 v4, v71
	s_waitcnt lgkmcnt(0)
	v_pk_fma_f16 v0, v106, v42, v0
	v_pk_fma_f16 v8, v107, v43, v0
	;; [unrolled: 1-line block ×6, first 2 shown]
	v_cvt_f32_f16_sdwa v10, v97 dst_sel:DWORD dst_unused:UNUSED_PAD src0_sel:WORD_1
	v_cvt_f32_f16_sdwa v57, v12 dst_sel:DWORD dst_unused:UNUSED_PAD src0_sel:WORD_1
	;; [unrolled: 1-line block ×3, first 2 shown]
	s_add_i32 s11, s4, 0x530
	s_waitcnt vmcnt(1)
	v_cvt_f32_f16_e32 v1, v3
	s_waitcnt vmcnt(0)
	v_cvt_f32_f16_e32 v0, v2
	v_cvt_f32_f16_sdwa v3, v3 dst_sel:DWORD dst_unused:UNUSED_PAD src0_sel:WORD_1
	v_cvt_f32_f16_sdwa v2, v2 dst_sel:DWORD dst_unused:UNUSED_PAD src0_sel:WORD_1
	v_pk_add_f32 v[0:1], v[0:1], v[2:3]
	buffer_load_dword v2, off, s[28:31], 0 offset:8 ; 4-byte Folded Reload
	buffer_load_dword v3, off, s[28:31], 0 offset:12 ; 4-byte Folded Reload
	s_waitcnt vmcnt(0)
	v_pk_fma_f32 v[0:1], v[0:1], v[20:21], v[2:3]
	v_pk_add_f32 v[2:3], v[4:5], v[46:47]
	v_cvt_f32_f16_e32 v5, v125
	v_cvt_f32_f16_e32 v4, v97
	v_cvt_f32_f16_e32 v47, v12
	v_cvt_f32_f16_e32 v46, v8
	v_pk_fma_f32 v[0:1], v[2:3], v[20:21], v[0:1]
	v_pk_add_f32 v[2:3], v[4:5], v[10:11]
	v_pk_fma_f32 v[0:1], v[2:3], v[20:21], v[0:1]
	v_pk_add_f32 v[2:3], v[46:47], v[56:57]
	v_pk_fma_f32 v[56:57], v[2:3], v[20:21], v[0:1]
	v_pk_fma_f16 v0, v115, v40, 0
	v_pk_fma_f16 v4, v117, v40, 0
	v_pk_fma_f16 v0, v116, v41, v0
	v_pk_fma_f16 v4, v118, v41, v4
	v_pk_fma_f16 v0, v119, v42, v0
	buffer_load_dword v3, off, s[28:31], 0 offset:60 ; 4-byte Folded Reload
	v_pk_fma_f16 v4, v121, v42, v4
	v_cvt_f32_f16_e32 v40, v9
	v_cvt_f32_f16_sdwa v42, v9 dst_sel:DWORD dst_unused:UNUSED_PAD src0_sel:WORD_1
	buffer_load_dword v9, off, s[28:31], 0 offset:100 ; 4-byte Folded Reload
	buffer_load_dword v2, off, s[28:31], 0 offset:56 ; 4-byte Folded Reload
	v_pk_fma_f16 v8, v120, v43, v0
	v_pk_fma_f16 v10, v114, v43, v4
	v_cvt_f32_f16_sdwa v5, v83 dst_sel:DWORD dst_unused:UNUSED_PAD src0_sel:WORD_1
	v_cvt_f32_f16_sdwa v4, v81 dst_sel:DWORD dst_unused:UNUSED_PAD src0_sel:WORD_1
	v_cvt_f32_f16_e32 v41, v123
	v_cvt_f32_f16_sdwa v43, v123 dst_sel:DWORD dst_unused:UNUSED_PAD src0_sel:WORD_1
	s_waitcnt vmcnt(2)
	v_cvt_f32_f16_e32 v1, v3
	v_cvt_f32_f16_sdwa v3, v3 dst_sel:DWORD dst_unused:UNUSED_PAD src0_sel:WORD_1
	s_waitcnt vmcnt(0)
	v_cvt_f32_f16_e32 v0, v2
	v_cvt_f32_f16_sdwa v2, v2 dst_sel:DWORD dst_unused:UNUSED_PAD src0_sel:WORD_1
	v_pk_add_f32 v[0:1], v[0:1], v[2:3]
	v_cvt_f32_f16_e32 v3, v83
	v_cvt_f32_f16_e32 v2, v81
	v_pk_fma_f32 v[0:1], v[0:1], v[22:23], v[30:31]
	v_cvt_f32_f16_sdwa v31, v10 dst_sel:DWORD dst_unused:UNUSED_PAD src0_sel:WORD_1
	v_cvt_f32_f16_sdwa v30, v8 dst_sel:DWORD dst_unused:UNUSED_PAD src0_sel:WORD_1
	v_pk_add_f32 v[2:3], v[2:3], v[4:5]
	v_pk_fma_f32 v[0:1], v[2:3], v[22:23], v[0:1]
	v_pk_add_f32 v[2:3], v[40:41], v[42:43]
	v_pk_fma_f32 v[0:1], v[2:3], v[22:23], v[0:1]
	v_cvt_f32_f16_e32 v3, v10
	v_cvt_f32_f16_e32 v2, v8
	buffer_load_dword v8, off, s[28:31], 0 offset:96 ; 4-byte Folded Reload
	v_mov_b32_e32 v4, s11
	ds_read2_b32 v[40:41], v4 offset1:1
	v_pk_add_f32 v[2:3], v[2:3], v[30:31]
	v_pk_fma_f32 v[30:31], v[2:3], v[22:23], v[0:1]
	buffer_load_dword v3, off, s[28:31], 0 offset:52 ; 4-byte Folded Reload
	buffer_load_dword v2, off, s[28:31], 0 offset:48 ; 4-byte Folded Reload
	s_add_i32 s11, s4, 0x538
	v_mov_b32_e32 v4, s11
	ds_read2_b32 v[42:43], v4 offset1:1
	s_waitcnt lgkmcnt(1)
	v_pk_fma_f16 v0, v45, v40, 0
	v_pk_fma_f16 v0, v105, v41, v0
	v_cvt_f32_f16_e32 v5, v9
	v_cvt_f32_f16_sdwa v9, v9 dst_sel:DWORD dst_unused:UNUSED_PAD src0_sel:WORD_1
	s_waitcnt lgkmcnt(0)
	v_pk_fma_f16 v0, v106, v42, v0
	v_pk_fma_f16 v10, v107, v43, v0
	;; [unrolled: 1-line block ×6, first 2 shown]
	v_cvt_f32_f16_sdwa v47, v11 dst_sel:DWORD dst_unused:UNUSED_PAD src0_sel:WORD_1
	v_cvt_f32_f16_sdwa v46, v10 dst_sel:DWORD dst_unused:UNUSED_PAD src0_sel:WORD_1
	s_add_i32 s11, s4, 0x630
	s_waitcnt vmcnt(2)
	v_cvt_f32_f16_e32 v4, v8
	v_cvt_f32_f16_sdwa v8, v8 dst_sel:DWORD dst_unused:UNUSED_PAD src0_sel:WORD_1
	s_waitcnt vmcnt(1)
	v_cvt_f32_f16_e32 v1, v3
	s_waitcnt vmcnt(0)
	v_cvt_f32_f16_e32 v0, v2
	v_cvt_f32_f16_sdwa v3, v3 dst_sel:DWORD dst_unused:UNUSED_PAD src0_sel:WORD_1
	v_cvt_f32_f16_sdwa v2, v2 dst_sel:DWORD dst_unused:UNUSED_PAD src0_sel:WORD_1
	v_pk_add_f32 v[0:1], v[0:1], v[2:3]
	v_pk_add_f32 v[2:3], v[4:5], v[8:9]
	v_cvt_f32_f16_e32 v5, v112
	v_cvt_f32_f16_e32 v4, v111
	v_cvt_f32_f16_sdwa v9, v112 dst_sel:DWORD dst_unused:UNUSED_PAD src0_sel:WORD_1
	v_cvt_f32_f16_sdwa v8, v111 dst_sel:DWORD dst_unused:UNUSED_PAD src0_sel:WORD_1
	v_pk_fma_f32 v[0:1], v[0:1], v[20:21], v[14:15]
	v_cvt_f32_f16_e32 v15, v11
	v_cvt_f32_f16_e32 v14, v10
	v_pk_fma_f32 v[0:1], v[2:3], v[20:21], v[0:1]
	v_pk_add_f32 v[2:3], v[4:5], v[8:9]
	v_pk_fma_f16 v4, v117, v40, 0
	v_pk_fma_f16 v4, v118, v41, v4
	v_pk_fma_f32 v[0:1], v[2:3], v[20:21], v[0:1]
	v_pk_add_f32 v[2:3], v[14:15], v[46:47]
	v_pk_fma_f16 v4, v121, v42, v4
	v_pk_fma_f32 v[14:15], v[2:3], v[20:21], v[0:1]
	buffer_load_dword v3, off, s[28:31], 0 offset:44 ; 4-byte Folded Reload
	v_pk_fma_f16 v11, v114, v43, v4
	buffer_load_dword v4, off, s[28:31], 0 offset:88 ; 4-byte Folded Reload
	buffer_load_dword v2, off, s[28:31], 0 offset:40 ; 4-byte Folded Reload
	;; [unrolled: 1-line block ×3, first 2 shown]
	buffer_load_dword v12, off, s[28:31], 0 ; 4-byte Folded Reload
	buffer_load_dword v13, off, s[28:31], 0 offset:4 ; 4-byte Folded Reload
	v_pk_fma_f16 v0, v115, v40, 0
	v_pk_fma_f16 v0, v116, v41, v0
	;; [unrolled: 1-line block ×4, first 2 shown]
	v_cvt_f32_f16_e32 v9, v104
	v_cvt_f32_f16_e32 v8, v103
	v_cvt_f32_f16_sdwa v41, v104 dst_sel:DWORD dst_unused:UNUSED_PAD src0_sel:WORD_1
	v_cvt_f32_f16_sdwa v40, v103 dst_sel:DWORD dst_unused:UNUSED_PAD src0_sel:WORD_1
	;; [unrolled: 1-line block ×4, first 2 shown]
	s_waitcnt vmcnt(5)
	v_cvt_f32_f16_e32 v1, v3
	v_cvt_f32_f16_sdwa v3, v3 dst_sel:DWORD dst_unused:UNUSED_PAD src0_sel:WORD_1
	s_waitcnt vmcnt(3)
	v_cvt_f32_f16_e32 v0, v2
	v_cvt_f32_f16_sdwa v2, v2 dst_sel:DWORD dst_unused:UNUSED_PAD src0_sel:WORD_1
	v_pk_add_f32 v[0:1], v[0:1], v[2:3]
	s_waitcnt vmcnt(2)
	v_cvt_f32_f16_e32 v3, v5
	v_cvt_f32_f16_e32 v2, v4
	v_cvt_f32_f16_sdwa v5, v5 dst_sel:DWORD dst_unused:UNUSED_PAD src0_sel:WORD_1
	v_cvt_f32_f16_sdwa v4, v4 dst_sel:DWORD dst_unused:UNUSED_PAD src0_sel:WORD_1
	s_waitcnt vmcnt(0)
	v_pk_fma_f32 v[0:1], v[0:1], v[22:23], v[12:13]
	v_cvt_f32_f16_sdwa v13, v102 dst_sel:DWORD dst_unused:UNUSED_PAD src0_sel:WORD_1
	v_cvt_f32_f16_sdwa v12, v101 dst_sel:DWORD dst_unused:UNUSED_PAD src0_sel:WORD_1
	v_pk_add_f32 v[2:3], v[2:3], v[4:5]
	v_pk_fma_f32 v[0:1], v[2:3], v[22:23], v[0:1]
	v_pk_add_f32 v[2:3], v[8:9], v[40:41]
	v_pk_fma_f32 v[0:1], v[2:3], v[22:23], v[0:1]
	v_cvt_f32_f16_e32 v3, v11
	v_cvt_f32_f16_e32 v2, v10
	v_cvt_f32_f16_sdwa v5, v11 dst_sel:DWORD dst_unused:UNUSED_PAD src0_sel:WORD_1
	v_cvt_f32_f16_sdwa v4, v10 dst_sel:DWORD dst_unused:UNUSED_PAD src0_sel:WORD_1
	v_mov_b32_e32 v8, s11
	ds_read2_b32 v[8:9], v8 offset1:1
	s_add_i32 s11, s4, 0x638
	v_pk_add_f32 v[2:3], v[2:3], v[4:5]
	v_pk_fma_f32 v[46:47], v[2:3], v[22:23], v[0:1]
	buffer_load_dword v3, off, s[28:31], 0 offset:36 ; 4-byte Folded Reload
	buffer_load_dword v2, off, s[28:31], 0 offset:32 ; 4-byte Folded Reload
	v_mov_b32_e32 v10, s11
	ds_read2_b32 v[40:41], v10 offset1:1
	s_waitcnt lgkmcnt(1)
	v_pk_fma_f16 v0, v45, v8, 0
	v_pk_fma_f16 v0, v105, v9, v0
	v_cvt_f32_f16_e32 v5, v86
	v_cvt_f32_f16_e32 v4, v72
	s_waitcnt lgkmcnt(0)
	v_pk_fma_f16 v0, v106, v40, v0
	v_pk_fma_f16 v10, v107, v41, v0
	;; [unrolled: 1-line block ×6, first 2 shown]
	v_cvt_f32_f16_sdwa v45, v11 dst_sel:DWORD dst_unused:UNUSED_PAD src0_sel:WORD_1
	v_cvt_f32_f16_sdwa v44, v10 dst_sel:DWORD dst_unused:UNUSED_PAD src0_sel:WORD_1
	s_add_i32 s4, s4, 64
	s_cmp_ge_i32 s24, s25
	s_waitcnt vmcnt(1)
	v_cvt_f32_f16_e32 v1, v3
	s_waitcnt vmcnt(0)
	v_cvt_f32_f16_e32 v0, v2
	v_cvt_f32_f16_sdwa v3, v3 dst_sel:DWORD dst_unused:UNUSED_PAD src0_sel:WORD_1
	v_cvt_f32_f16_sdwa v2, v2 dst_sel:DWORD dst_unused:UNUSED_PAD src0_sel:WORD_1
	v_pk_add_f32 v[0:1], v[0:1], v[2:3]
	buffer_load_dword v2, off, s[28:31], 0 offset:16 ; 4-byte Folded Reload
	buffer_load_dword v3, off, s[28:31], 0 offset:20 ; 4-byte Folded Reload
	s_waitcnt vmcnt(0)
	v_pk_fma_f32 v[0:1], v[0:1], v[20:21], v[2:3]
	v_pk_add_f32 v[2:3], v[4:5], v[42:43]
	v_cvt_f32_f16_e32 v5, v102
	v_cvt_f32_f16_e32 v4, v101
	;; [unrolled: 1-line block ×4, first 2 shown]
	v_pk_fma_f32 v[0:1], v[2:3], v[20:21], v[0:1]
	v_pk_add_f32 v[2:3], v[4:5], v[12:13]
	v_pk_fma_f32 v[0:1], v[2:3], v[20:21], v[0:1]
	v_pk_add_f32 v[2:3], v[42:43], v[44:45]
	v_pk_fma_f32 v[12:13], v[2:3], v[20:21], v[0:1]
	buffer_load_dword v3, off, s[28:31], 0 offset:28 ; 4-byte Folded Reload
	buffer_load_dword v2, off, s[28:31], 0 offset:24 ; 4-byte Folded Reload
	v_pk_fma_f16 v0, v115, v8, 0
	v_pk_fma_f16 v0, v116, v9, v0
	;; [unrolled: 1-line block ×7, first 2 shown]
	v_cvt_f32_f16_e32 v5, v82
	v_cvt_f32_f16_e32 v4, v80
	v_cvt_f32_f16_sdwa v9, v82 dst_sel:DWORD dst_unused:UNUSED_PAD src0_sel:WORD_1
	v_cvt_f32_f16_sdwa v8, v80 dst_sel:DWORD dst_unused:UNUSED_PAD src0_sel:WORD_1
	v_pk_fma_f16 v11, v114, v41, v11
	v_cvt_f32_f16_sdwa v41, v11 dst_sel:DWORD dst_unused:UNUSED_PAD src0_sel:WORD_1
	v_cvt_f32_f16_sdwa v40, v10 dst_sel:DWORD dst_unused:UNUSED_PAD src0_sel:WORD_1
	s_waitcnt vmcnt(1)
	v_cvt_f32_f16_e32 v1, v3
	s_waitcnt vmcnt(0)
	v_cvt_f32_f16_e32 v0, v2
	v_cvt_f32_f16_sdwa v3, v3 dst_sel:DWORD dst_unused:UNUSED_PAD src0_sel:WORD_1
	v_cvt_f32_f16_sdwa v2, v2 dst_sel:DWORD dst_unused:UNUSED_PAD src0_sel:WORD_1
	v_pk_add_f32 v[0:1], v[0:1], v[2:3]
	v_pk_fma_f32 v[0:1], v[0:1], v[22:23], v[6:7]
	v_pk_add_f32 v[2:3], v[4:5], v[8:9]
	v_cvt_f32_f16_e32 v5, v84
	v_cvt_f32_f16_e32 v4, v76
	v_cvt_f32_f16_sdwa v7, v84 dst_sel:DWORD dst_unused:UNUSED_PAD src0_sel:WORD_1
	v_cvt_f32_f16_sdwa v6, v76 dst_sel:DWORD dst_unused:UNUSED_PAD src0_sel:WORD_1
	v_cvt_f32_f16_e32 v9, v11
	v_cvt_f32_f16_e32 v8, v10
	v_pk_fma_f32 v[0:1], v[2:3], v[22:23], v[0:1]
	v_pk_add_f32 v[2:3], v[4:5], v[6:7]
	v_pk_fma_f32 v[0:1], v[2:3], v[22:23], v[0:1]
	v_pk_add_f32 v[2:3], v[8:9], v[40:41]
	v_pk_fma_f32 v[6:7], v[2:3], v[22:23], v[0:1]
	v_mov_b32_e32 v0, s1
	v_addc_co_u32_e32 v17, vcc, v17, v0, vcc
	s_cbranch_scc1 .LBB41_22
.LBB41_20:                              ; =>This Inner Loop Header: Depth=1
	s_cmp_lg_u32 s24, s10
	buffer_store_dword v46, off, s[28:31], 0 ; 4-byte Folded Spill
	s_nop 0
	buffer_store_dword v47, off, s[28:31], 0 offset:4 ; 4-byte Folded Spill
	buffer_store_dword v56, off, s[28:31], 0 offset:8 ; 4-byte Folded Spill
	s_nop 0
	buffer_store_dword v57, off, s[28:31], 0 offset:12 ; 4-byte Folded Spill
	buffer_store_dword v12, off, s[28:31], 0 offset:16 ; 4-byte Folded Spill
	s_nop 0
	buffer_store_dword v13, off, s[28:31], 0 offset:20 ; 4-byte Folded Spill
	s_cbranch_scc1 .LBB41_19
; %bb.21:                               ;   in Loop: Header=BB41_20 Depth=1
	buffer_load_dword v0, off, s[28:31], 0 offset:120 ; 4-byte Folded Reload
	buffer_load_dword v2, off, s[28:31], 0 offset:112 ; 4-byte Folded Reload
	;; [unrolled: 1-line block ×3, first 2 shown]
	s_add_i32 s6, s6, 1
	s_mul_i32 s11, s6, s20
	v_mov_b32_e32 v5, s17
	s_ashr_i32 s12, s11, 31
	s_lshr_b32 s12, s12, 29
	s_add_i32 s12, s11, s12
	s_ashr_i32 s12, s12, 3
	v_mov_b32_e32 v4, s15
	s_add_i32 s10, s10, s5
	s_waitcnt vmcnt(2)
	v_add_u32_e32 v0, s12, v0
	s_waitcnt vmcnt(1)
	v_add_u32_e32 v2, s11, v2
	s_waitcnt vmcnt(0)
	v_ashrrev_i32_e32 v3, 31, v2
	v_lshlrev_b64 v[2:3], 1, v[2:3]
	v_add_co_u32_e32 v2, vcc, s16, v2
	v_addc_co_u32_e32 v3, vcc, v5, v3, vcc
	global_load_dwordx2 v[2:3], v[2:3], off
	v_ashrrev_i32_e32 v1, 31, v0
	v_lshlrev_b64 v[0:1], 2, v[0:1]
	v_add_co_u32_e32 v0, vcc, s14, v0
	v_addc_co_u32_e32 v1, vcc, v4, v1, vcc
	global_load_dword v0, v[0:1], off
	s_waitcnt vmcnt(1)
	v_cvt_f32_f16_e32 v20, v2
	v_cvt_f32_f16_sdwa v21, v2 dst_sel:DWORD dst_unused:UNUSED_PAD src0_sel:WORD_1
	buffer_load_dword v2, off, s[28:31], 0 offset:124 ; 4-byte Folded Reload
	buffer_load_dword v5, off, s[28:31], 0 offset:128 ; 4-byte Folded Reload
	v_cvt_f32_f16_e32 v22, v3
	v_cvt_f32_f16_sdwa v23, v3 dst_sel:DWORD dst_unused:UNUSED_PAD src0_sel:WORD_1
	s_waitcnt vmcnt(1)
	v_lshrrev_b32_e32 v1, v2, v0
	v_bfe_u32 v0, v0, v2, 4
	v_bfe_u32 v2, v1, 4, 4
	;; [unrolled: 1-line block ×4, first 2 shown]
	s_waitcnt vmcnt(0)
	v_add_u32_e32 v0, v0, v5
	v_or_b32_e32 v4, 0xffffe400, v0
	v_cvt_f32_ubyte0_e32 v0, v0
	v_add_u32_e32 v2, v2, v5
	v_add_u32_e32 v3, v3, v5
	;; [unrolled: 1-line block ×3, first 2 shown]
	v_cvt_f16_f32_e32 v0, v0
	v_perm_b32 v48, v4, v4, s8
	v_or_b32_e32 v4, 0xffffe400, v2
	v_cvt_f32_ubyte0_e32 v2, v2
	v_or_b32_e32 v5, 0xffffe400, v3
	v_cvt_f32_ubyte0_e32 v3, v3
	;; [unrolled: 2-line block ×3, first 2 shown]
	v_cvt_f16_f32_e32 v2, v2
	v_cvt_f16_f32_e32 v3, v3
	;; [unrolled: 1-line block ×3, first 2 shown]
	v_sub_f16_e32 v0, 0xd400, v0
	v_pack_b32_f16 v52, v0, v0
	v_sub_f16_e32 v0, 0xd400, v2
	v_sub_f16_e32 v2, 0xd400, v3
	v_sub_f16_e32 v1, 0xd400, v1
	v_perm_b32 v49, v4, v4, s8
	v_perm_b32 v50, v5, v5, s8
	;; [unrolled: 1-line block ×3, first 2 shown]
	v_pack_b32_f16 v53, v0, v0
	v_pack_b32_f16 v54, v2, v2
	;; [unrolled: 1-line block ×3, first 2 shown]
	s_branch .LBB41_19
.LBB41_22:
	v_cvt_f16_f32_e32 v0, v37
	v_cvt_f16_f32_e32 v1, v36
	;; [unrolled: 1-line block ×5, first 2 shown]
	v_pack_b32_f16 v29, v1, v0
	v_cvt_f16_f32_e32 v0, v35
	v_pack_b32_f16 v28, v3, v2
	v_cvt_f16_f32_e32 v1, v34
	v_cvt_f16_f32_e32 v2, v27
	;; [unrolled: 1-line block ×6, first 2 shown]
	v_pack_b32_f16 v23, v1, v0
	v_pack_b32_f16 v22, v3, v2
	v_pack_b32_f16 v21, v5, v4
	v_cvt_f16_f32_e32 v0, v25
	v_cvt_f16_f32_e32 v1, v24
	v_cvt_f16_f32_e32 v2, v19
	v_cvt_f16_f32_e32 v3, v18
	v_cvt_f16_f32_e32 v4, v57
	v_cvt_f16_f32_e32 v5, v56
	v_pack_b32_f16 v20, v9, v8
	v_cvt_f16_f32_e32 v8, v31
	v_cvt_f16_f32_e32 v9, v30
	v_pack_b32_f16 v17, v1, v0
	v_pack_b32_f16 v16, v3, v2
	;; [unrolled: 1-line block ×3, first 2 shown]
	v_cvt_f16_f32_e32 v0, v15
	v_cvt_f16_f32_e32 v1, v14
	;; [unrolled: 1-line block ×8, first 2 shown]
	v_pack_b32_f16 v10, v9, v8
	v_pack_b32_f16 v9, v1, v0
	;; [unrolled: 1-line block ×5, first 2 shown]
.LBB41_23:
	buffer_load_dword v0, off, s[28:31], 0 offset:112 ; 4-byte Folded Reload
	buffer_load_dword v1, off, s[28:31], 0 offset:116 ; 4-byte Folded Reload
	s_mul_i32 s7, s7, s20
	s_mov_b64 s[0:1], 0
	s_waitcnt vmcnt(1)
	v_add_u32_e32 v0, s7, v0
	s_waitcnt vmcnt(0)
	v_ashrrev_i32_e32 v1, 31, v0
	v_lshlrev_b64 v[2:3], 1, v[0:1]
	v_mov_b32_e32 v1, s19
	v_add_co_u32_e32 v2, vcc, s18, v2
	v_addc_co_u32_e32 v3, vcc, v1, v3, vcc
	global_load_dword v5, v[2:3], off
.LBB41_24:                              ; =>This Inner Loop Header: Depth=1
	s_waitcnt vmcnt(0)
	v_pk_add_f16 v4, v29, v5
	global_atomic_cmpswap v1, v[2:3], v[4:5], off glc
	s_waitcnt vmcnt(0)
	v_cmp_eq_u32_e32 vcc, v5, v1
	s_or_b64 s[0:1], vcc, s[0:1]
	v_mov_b32_e32 v5, v1
	s_andn2_b64 exec, exec, s[0:1]
	s_cbranch_execnz .LBB41_24
; %bb.25:
	s_or_b64 exec, exec, s[0:1]
	global_load_dword v5, v[2:3], off offset:4
	s_mov_b64 s[0:1], 0
.LBB41_26:                              ; =>This Inner Loop Header: Depth=1
	s_waitcnt vmcnt(0)
	v_pk_add_f16 v4, v28, v5
	global_atomic_cmpswap v1, v[2:3], v[4:5], off offset:4 glc
	s_waitcnt vmcnt(0)
	v_cmp_eq_u32_e32 vcc, v5, v1
	s_or_b64 s[0:1], vcc, s[0:1]
	v_mov_b32_e32 v5, v1
	s_andn2_b64 exec, exec, s[0:1]
	s_cbranch_execnz .LBB41_26
; %bb.27:
	s_or_b64 exec, exec, s[0:1]
	v_add_u32_e32 v0, s20, v0
	v_ashrrev_i32_e32 v1, 31, v0
	v_lshlrev_b64 v[2:3], 1, v[0:1]
	v_mov_b32_e32 v1, s19
	v_add_co_u32_e32 v2, vcc, s18, v2
	v_addc_co_u32_e32 v3, vcc, v1, v3, vcc
	global_load_dword v5, v[2:3], off
	s_mov_b64 s[0:1], 0
.LBB41_28:                              ; =>This Inner Loop Header: Depth=1
	s_waitcnt vmcnt(0)
	v_pk_add_f16 v4, v23, v5
	global_atomic_cmpswap v1, v[2:3], v[4:5], off glc
	s_waitcnt vmcnt(0)
	v_cmp_eq_u32_e32 vcc, v5, v1
	s_or_b64 s[0:1], vcc, s[0:1]
	v_mov_b32_e32 v5, v1
	s_andn2_b64 exec, exec, s[0:1]
	s_cbranch_execnz .LBB41_28
; %bb.29:
	s_or_b64 exec, exec, s[0:1]
	global_load_dword v5, v[2:3], off offset:4
	s_mov_b64 s[0:1], 0
.LBB41_30:                              ; =>This Inner Loop Header: Depth=1
	s_waitcnt vmcnt(0)
	v_pk_add_f16 v4, v22, v5
	global_atomic_cmpswap v1, v[2:3], v[4:5], off offset:4 glc
	s_waitcnt vmcnt(0)
	v_cmp_eq_u32_e32 vcc, v5, v1
	s_or_b64 s[0:1], vcc, s[0:1]
	v_mov_b32_e32 v5, v1
	s_andn2_b64 exec, exec, s[0:1]
	s_cbranch_execnz .LBB41_30
; %bb.31:
	s_or_b64 exec, exec, s[0:1]
	v_add_u32_e32 v0, s20, v0
	v_ashrrev_i32_e32 v1, 31, v0
	v_lshlrev_b64 v[2:3], 1, v[0:1]
	v_mov_b32_e32 v1, s19
	v_add_co_u32_e32 v2, vcc, s18, v2
	v_addc_co_u32_e32 v3, vcc, v1, v3, vcc
	global_load_dword v5, v[2:3], off
	s_mov_b64 s[0:1], 0
	;; [unrolled: 34-line block ×6, first 2 shown]
.LBB41_48:                              ; =>This Inner Loop Header: Depth=1
	s_waitcnt vmcnt(0)
	v_pk_add_f16 v2, v7, v3
	global_atomic_cmpswap v2, v[0:1], v[2:3], off glc
	s_waitcnt vmcnt(0)
	v_cmp_eq_u32_e32 vcc, v3, v2
	s_or_b64 s[0:1], vcc, s[0:1]
	v_mov_b32_e32 v3, v2
	s_andn2_b64 exec, exec, s[0:1]
	s_cbranch_execnz .LBB41_48
; %bb.49:
	s_or_b64 exec, exec, s[0:1]
	global_load_dword v3, v[0:1], off offset:4
	s_mov_b64 s[0:1], 0
.LBB41_50:                              ; =>This Inner Loop Header: Depth=1
	s_waitcnt vmcnt(0)
	v_pk_add_f16 v2, v6, v3
	global_atomic_cmpswap v2, v[0:1], v[2:3], off offset:4 glc
	s_waitcnt vmcnt(0)
	v_cmp_eq_u32_e32 vcc, v3, v2
	s_or_b64 s[0:1], vcc, s[0:1]
	v_mov_b32_e32 v3, v2
	s_andn2_b64 exec, exec, s[0:1]
	s_cbranch_execnz .LBB41_50
.LBB41_51:
	s_endpgm
	.section	.rodata,"a",@progbits
	.p2align	6, 0x0
	.amdhsa_kernel _ZN4vllm4gptq33gemm_half_q_half_gptq_4bit_kernelILb1ELi7EEEvPK6__halfPKjS6_S4_PS2_iiiibPKi
		.amdhsa_group_segment_fixed_size 1792
		.amdhsa_private_segment_fixed_size 136
		.amdhsa_kernarg_size 72
		.amdhsa_user_sgpr_count 6
		.amdhsa_user_sgpr_private_segment_buffer 1
		.amdhsa_user_sgpr_dispatch_ptr 0
		.amdhsa_user_sgpr_queue_ptr 0
		.amdhsa_user_sgpr_kernarg_segment_ptr 1
		.amdhsa_user_sgpr_dispatch_id 0
		.amdhsa_user_sgpr_flat_scratch_init 0
		.amdhsa_user_sgpr_kernarg_preload_length 0
		.amdhsa_user_sgpr_kernarg_preload_offset 0
		.amdhsa_user_sgpr_private_segment_size 0
		.amdhsa_uses_dynamic_stack 0
		.amdhsa_system_sgpr_private_segment_wavefront_offset 1
		.amdhsa_system_sgpr_workgroup_id_x 1
		.amdhsa_system_sgpr_workgroup_id_y 1
		.amdhsa_system_sgpr_workgroup_id_z 1
		.amdhsa_system_sgpr_workgroup_info 0
		.amdhsa_system_vgpr_workitem_id 0
		.amdhsa_next_free_vgpr 128
		.amdhsa_next_free_sgpr 32
		.amdhsa_accum_offset 128
		.amdhsa_reserve_vcc 1
		.amdhsa_reserve_flat_scratch 0
		.amdhsa_float_round_mode_32 0
		.amdhsa_float_round_mode_16_64 0
		.amdhsa_float_denorm_mode_32 3
		.amdhsa_float_denorm_mode_16_64 3
		.amdhsa_dx10_clamp 1
		.amdhsa_ieee_mode 1
		.amdhsa_fp16_overflow 0
		.amdhsa_tg_split 0
		.amdhsa_exception_fp_ieee_invalid_op 0
		.amdhsa_exception_fp_denorm_src 0
		.amdhsa_exception_fp_ieee_div_zero 0
		.amdhsa_exception_fp_ieee_overflow 0
		.amdhsa_exception_fp_ieee_underflow 0
		.amdhsa_exception_fp_ieee_inexact 0
		.amdhsa_exception_int_div_zero 0
	.end_amdhsa_kernel
	.section	.text._ZN4vllm4gptq33gemm_half_q_half_gptq_4bit_kernelILb1ELi7EEEvPK6__halfPKjS6_S4_PS2_iiiibPKi,"axG",@progbits,_ZN4vllm4gptq33gemm_half_q_half_gptq_4bit_kernelILb1ELi7EEEvPK6__halfPKjS6_S4_PS2_iiiibPKi,comdat
.Lfunc_end41:
	.size	_ZN4vllm4gptq33gemm_half_q_half_gptq_4bit_kernelILb1ELi7EEEvPK6__halfPKjS6_S4_PS2_iiiibPKi, .Lfunc_end41-_ZN4vllm4gptq33gemm_half_q_half_gptq_4bit_kernelILb1ELi7EEEvPK6__halfPKjS6_S4_PS2_iiiibPKi
                                        ; -- End function
	.section	.AMDGPU.csdata,"",@progbits
; Kernel info:
; codeLenInByte = 12484
; NumSgprs: 36
; NumVgprs: 128
; NumAgprs: 0
; TotalNumVgprs: 128
; ScratchSize: 136
; MemoryBound: 0
; FloatMode: 240
; IeeeMode: 1
; LDSByteSize: 1792 bytes/workgroup (compile time only)
; SGPRBlocks: 4
; VGPRBlocks: 15
; NumSGPRsForWavesPerEU: 36
; NumVGPRsForWavesPerEU: 128
; AccumOffset: 128
; Occupancy: 4
; WaveLimiterHint : 0
; COMPUTE_PGM_RSRC2:SCRATCH_EN: 1
; COMPUTE_PGM_RSRC2:USER_SGPR: 6
; COMPUTE_PGM_RSRC2:TRAP_HANDLER: 0
; COMPUTE_PGM_RSRC2:TGID_X_EN: 1
; COMPUTE_PGM_RSRC2:TGID_Y_EN: 1
; COMPUTE_PGM_RSRC2:TGID_Z_EN: 1
; COMPUTE_PGM_RSRC2:TIDIG_COMP_CNT: 0
; COMPUTE_PGM_RSRC3_GFX90A:ACCUM_OFFSET: 31
; COMPUTE_PGM_RSRC3_GFX90A:TG_SPLIT: 0
	.section	.text._ZN4vllm4gptq33gemm_half_q_half_gptq_8bit_kernelILb1ELi7EEEvPK6__halfPKjS6_S4_PS2_iiiibPKi,"axG",@progbits,_ZN4vllm4gptq33gemm_half_q_half_gptq_8bit_kernelILb1ELi7EEEvPK6__halfPKjS6_S4_PS2_iiiibPKi,comdat
	.protected	_ZN4vllm4gptq33gemm_half_q_half_gptq_8bit_kernelILb1ELi7EEEvPK6__halfPKjS6_S4_PS2_iiiibPKi ; -- Begin function _ZN4vllm4gptq33gemm_half_q_half_gptq_8bit_kernelILb1ELi7EEEvPK6__halfPKjS6_S4_PS2_iiiibPKi
	.globl	_ZN4vllm4gptq33gemm_half_q_half_gptq_8bit_kernelILb1ELi7EEEvPK6__halfPKjS6_S4_PS2_iiiibPKi
	.p2align	8
	.type	_ZN4vllm4gptq33gemm_half_q_half_gptq_8bit_kernelILb1ELi7EEEvPK6__halfPKjS6_S4_PS2_iiiibPKi,@function
_ZN4vllm4gptq33gemm_half_q_half_gptq_8bit_kernelILb1ELi7EEEvPK6__halfPKjS6_S4_PS2_iiiibPKi: ; @_ZN4vllm4gptq33gemm_half_q_half_gptq_8bit_kernelILb1ELi7EEEvPK6__halfPKjS6_S4_PS2_iiiibPKi
; %bb.0:
	s_mov_b64 s[30:31], s[2:3]
	s_load_dwordx8 s[12:19], s[4:5], 0x8
	s_load_dwordx4 s[20:23], s[4:5], 0x2c
	s_mov_b64 s[28:29], s[0:1]
	s_add_u32 s28, s28, s9
	s_addc_u32 s29, s29, 0
	s_lshl_b32 s24, s8, 7
	s_add_i32 s0, s24, 0x80
	v_cvt_f64_u32_e32 v[2:3], s0
	s_waitcnt lgkmcnt(0)
	v_cvt_f64_i32_e32 v[4:5], s21
	v_min_f64 v[2:3], v[2:3], v[4:5]
	v_cvt_i32_f64_e32 v1, v[2:3]
	v_add_u32_e32 v2, s24, v0
	s_mul_i32 s7, s7, 7
	v_readfirstlane_b32 s25, v1
	v_cmp_lt_u32_e32 vcc, v2, v1
	s_and_saveexec_b64 s[2:3], vcc
	s_cbranch_execz .LBB42_16
; %bb.1:
	s_load_dwordx2 s[0:1], s[4:5], 0x40
	s_load_dwordx2 s[8:9], s[4:5], 0x0
	v_mov_b32_e32 v3, 0
	v_lshlrev_b64 v[4:5], 2, v[2:3]
	v_pk_mov_b32 v[6:7], v[2:3], v[2:3] op_sel:[0,1]
	s_waitcnt lgkmcnt(0)
	s_cmp_lg_u64 s[0:1], 0
	v_mov_b32_e32 v1, s1
	v_add_co_u32_e32 v4, vcc, s0, v4
	s_cselect_b64 s[4:5], -1, 0
	s_cmp_eq_u64 s[0:1], 0
	v_addc_co_u32_e32 v5, vcc, v1, v5, vcc
	s_cbranch_scc1 .LBB42_3
; %bb.2:
	global_load_dword v6, v[4:5], off
	s_waitcnt vmcnt(0)
	v_ashrrev_i32_e32 v7, 31, v6
.LBB42_3:
	s_mul_i32 s10, s7, s21
	s_ashr_i32 s11, s10, 31
	s_lshl_b64 s[0:1], s[10:11], 1
	s_add_u32 s0, s8, s0
	s_addc_u32 s1, s9, s1
	v_lshlrev_b64 v[6:7], 1, v[6:7]
	v_mov_b32_e32 v1, s1
	v_add_co_u32_e32 v6, vcc, s0, v6
	v_addc_co_u32_e32 v7, vcc, v1, v7, vcc
	global_load_ushort v6, v[6:7], off
	v_lshlrev_b32_e32 v1, 1, v0
	v_cndmask_b32_e64 v7, 0, 1, s[4:5]
	v_cmp_ne_u32_e64 s[0:1], 1, v7
	s_andn2_b64 vcc, exec, s[4:5]
	s_waitcnt vmcnt(0)
	ds_write_b16 v1, v6
	v_pk_mov_b32 v[6:7], v[2:3], v[2:3] op_sel:[0,1]
	s_cbranch_vccnz .LBB42_5
; %bb.4:
	global_load_dword v6, v[4:5], off
	s_waitcnt vmcnt(0)
	v_ashrrev_i32_e32 v7, 31, v6
.LBB42_5:
	s_add_i32 s4, s10, s21
	s_ashr_i32 s5, s4, 31
	s_lshl_b64 s[10:11], s[4:5], 1
	s_add_u32 s5, s8, s10
	s_addc_u32 s10, s9, s11
	v_lshlrev_b64 v[6:7], 1, v[6:7]
	v_mov_b32_e32 v8, s10
	v_add_co_u32_e32 v6, vcc, s5, v6
	v_addc_co_u32_e32 v7, vcc, v8, v7, vcc
	global_load_ushort v6, v[6:7], off
	s_and_b64 vcc, exec, s[0:1]
	s_waitcnt vmcnt(0)
	ds_write_b16 v1, v6 offset:256
	v_pk_mov_b32 v[6:7], v[2:3], v[2:3] op_sel:[0,1]
	s_cbranch_vccnz .LBB42_7
; %bb.6:
	global_load_dword v6, v[4:5], off
	s_waitcnt vmcnt(0)
	v_ashrrev_i32_e32 v7, 31, v6
.LBB42_7:
	s_add_i32 s4, s4, s21
	s_ashr_i32 s5, s4, 31
	s_lshl_b64 s[10:11], s[4:5], 1
	s_add_u32 s5, s8, s10
	s_addc_u32 s10, s9, s11
	v_lshlrev_b64 v[6:7], 1, v[6:7]
	v_mov_b32_e32 v8, s10
	v_add_co_u32_e32 v6, vcc, s5, v6
	v_addc_co_u32_e32 v7, vcc, v8, v7, vcc
	global_load_ushort v6, v[6:7], off
	s_and_b64 vcc, exec, s[0:1]
	s_waitcnt vmcnt(0)
	ds_write_b16 v1, v6 offset:512
	;; [unrolled: 20-line block ×5, first 2 shown]
	s_cbranch_vccnz .LBB42_15
; %bb.14:
	global_load_dword v2, v[4:5], off
	s_waitcnt vmcnt(0)
	v_ashrrev_i32_e32 v3, 31, v2
.LBB42_15:
	s_add_i32 s0, s4, s21
	s_ashr_i32 s1, s0, 31
	s_lshl_b64 s[0:1], s[0:1], 1
	s_add_u32 s0, s8, s0
	s_addc_u32 s1, s9, s1
	v_lshlrev_b64 v[2:3], 1, v[2:3]
	v_mov_b32_e32 v4, s1
	v_add_co_u32_e32 v2, vcc, s0, v2
	v_addc_co_u32_e32 v3, vcc, v4, v3, vcc
	global_load_ushort v2, v[2:3], off
	s_waitcnt vmcnt(0)
	ds_write_b16 v1, v2 offset:1536
.LBB42_16:
	s_or_b64 exec, exec, s[2:3]
	v_lshlrev_b32_e32 v0, 2, v0
	v_lshl_add_u32 v2, s6, 9, v0
	v_mov_b32_e32 v0, v2
	v_cmp_gt_i32_e32 vcc, s20, v2
	buffer_store_dword v0, off, s[28:31], 0 offset:508 ; 4-byte Folded Spill
	s_nop 0
	buffer_store_dword v1, off, s[28:31], 0 offset:512 ; 4-byte Folded Spill
	s_and_saveexec_b64 s[0:1], vcc
	s_cbranch_execz .LBB42_51
; %bb.17:
	s_abs_i32 s0, s22
	v_cvt_f32_u32_e32 v0, s0
	s_mov_b32 s2, 0
	v_mov_b32_e32 v42, 0
	v_mov_b32_e32 v26, 0
	v_rcp_iflag_f32_e32 v0, v0
	v_mov_b32_e32 v38, 0
	v_mov_b32_e32 v24, 0
	s_cmp_ge_i32 s24, s25
	v_mul_f32_e32 v0, 0x4f7ffffe, v0
	v_cvt_u32_f32_e32 v0, v0
	v_mov_b32_e32 v37, 0
	v_mov_b32_e32 v20, 0
	;; [unrolled: 1-line block ×3, first 2 shown]
	v_readfirstlane_b32 s1, v0
	v_mov_b32_e32 v9, 0
	v_mov_b32_e32 v35, 0
	;; [unrolled: 1-line block ×7, first 2 shown]
	s_waitcnt lgkmcnt(0)
	s_barrier
	s_cbranch_scc1 .LBB42_23
; %bb.18:
	buffer_load_dword v2, off, s[28:31], 0 offset:508 ; 4-byte Folded Reload
	buffer_load_dword v3, off, s[28:31], 0 offset:512 ; 4-byte Folded Reload
	s_sub_i32 s6, 0, s0
	s_mul_i32 s6, s6, s1
	s_mul_hi_u32 s6, s1, s6
	s_abs_i32 s5, s21
	s_add_i32 s1, s1, s6
	s_ashr_i32 s3, s21, 31
	s_ashr_i32 s4, s22, 31
	s_mul_hi_u32 s1, s5, s1
	s_xor_b32 s3, s3, s4
	s_mul_i32 s4, s1, s0
	s_sub_i32 s4, s5, s4
	s_add_i32 s5, s1, 1
	s_sub_i32 s6, s4, s0
	s_cmp_ge_u32 s4, s0
	s_cselect_b32 s1, s5, s1
	s_cselect_b32 s4, s6, s4
	s_add_i32 s5, s1, 1
	s_cmp_ge_u32 s4, s0
	s_cselect_b32 s0, s5, s1
	s_xor_b32 s0, s0, s3
	s_sub_i32 s3, s0, s3
	v_cvt_f32_u32_e32 v0, s3
	s_bitcmp1_b32 s23, 0
	s_cselect_b64 s[0:1], -1, 0
	s_sub_i32 s4, 0, s3
	v_rcp_iflag_f32_e32 v0, v0
	s_xor_b64 s[0:1], s[0:1], -1
	v_mov_b32_e32 v5, s15
	v_mov_b32_e32 v4, s17
	v_mul_f32_e32 v0, 0x4f7ffffe, v0
	v_cvt_u32_f32_e32 v0, v0
	v_mov_b32_e32 v8, 0
	v_mov_b32_e32 v32, 0
	;; [unrolled: 1-line block ×3, first 2 shown]
	v_readfirstlane_b32 s5, v0
	s_mul_i32 s4, s4, s5
	s_mul_hi_u32 s4, s5, s4
	s_add_i32 s5, s5, s4
	s_mul_hi_u32 s4, s24, s5
	s_mul_i32 s5, s4, s3
	s_sub_i32 s5, s24, s5
	s_add_i32 s6, s4, 1
	s_sub_i32 s8, s5, s3
	s_cmp_ge_u32 s5, s3
	s_cselect_b32 s4, s6, s4
	s_cselect_b32 s5, s8, s5
	s_add_i32 s6, s4, 1
	s_cmp_ge_u32 s5, s3
	s_cselect_b32 s4, s6, s4
	s_mul_i32 s5, s4, s20
	s_ashr_i32 s6, s5, 31
	s_lshr_b32 s6, s6, 30
	v_mov_b32_e32 v33, 0
	v_mov_b32_e32 v7, 0
	;; [unrolled: 1-line block ×11, first 2 shown]
	s_waitcnt vmcnt(1)
	v_mov_b32_e32 v10, v2
	v_add_u32_e32 v0, s5, v10
	s_add_i32 s5, s5, s6
	v_ashrrev_i32_e32 v2, 2, v10
	s_ashr_i32 s5, s5, 2
	buffer_store_dword v2, off, s[28:31], 0 offset:516 ; 4-byte Folded Spill
	v_add_u32_e32 v2, s5, v2
	s_waitcnt vmcnt(1)
	v_ashrrev_i32_e32 v3, 31, v2
	v_lshlrev_b64 v[2:3], 2, v[2:3]
	v_add_co_u32_e32 v2, vcc, s14, v2
	v_addc_co_u32_e32 v3, vcc, v5, v3, vcc
	global_load_dword v2, v[2:3], off
	v_ashrrev_i32_e32 v1, 31, v0
	v_lshlrev_b64 v[0:1], 1, v[0:1]
	v_cndmask_b32_e64 v3, 0, 1, s[0:1]
	s_lshr_b32 s0, s24, 2
	v_add_co_u32_e32 v0, vcc, s16, v0
	s_mul_i32 s0, s0, s20
	v_addc_co_u32_e32 v1, vcc, v4, v1, vcc
	s_ashr_i32 s1, s0, 31
	global_load_dwordx2 v[22:23], v[0:1], off
	v_mov_b32_e32 v0, v10
	s_lshl_b64 s[0:1], s[0:1], 2
	v_ashrrev_i32_e32 v11, 31, v10
	buffer_store_dword v0, off, s[28:31], 0 offset:508 ; 4-byte Folded Spill
	s_nop 0
	buffer_store_dword v1, off, s[28:31], 0 offset:512 ; 4-byte Folded Spill
	s_add_u32 s6, s12, s0
	v_lshlrev_b64 v[0:1], 2, v[10:11]
	s_addc_u32 s0, s13, s1
	buffer_store_dword v3, off, s[28:31], 0 offset:504 ; 4-byte Folded Spill
	v_mov_b32_e32 v3, s0
	v_add_co_u32_e32 v12, vcc, s6, v0
	v_addc_co_u32_e32 v13, vcc, v3, v1, vcc
	s_ashr_i32 s21, s20, 31
	s_add_i32 s5, s3, s24
	s_lshl_b64 s[0:1], s[20:21], 2
	s_waitcnt vmcnt(4)
	v_and_b32_e32 v0, 0xff, v2
	buffer_store_dword v0, off, s[28:31], 0 offset:440 ; 4-byte Folded Spill
	s_nop 0
	buffer_store_dword v1, off, s[28:31], 0 offset:444 ; 4-byte Folded Spill
	buffer_store_dword v2, off, s[28:31], 0 offset:448 ; 4-byte Folded Spill
	;; [unrolled: 1-line block ×3, first 2 shown]
	v_bfe_u32 v1, v2, 8, 8
	buffer_store_dword v0, off, s[28:31], 0 offset:456 ; 4-byte Folded Spill
	s_nop 0
	buffer_store_dword v1, off, s[28:31], 0 offset:460 ; 4-byte Folded Spill
	buffer_store_dword v2, off, s[28:31], 0 offset:464 ; 4-byte Folded Spill
	;; [unrolled: 1-line block ×3, first 2 shown]
	v_bfe_u32 v10, v2, 16, 8
	v_lshrrev_b32_e32 v3, 24, v2
	buffer_store_dword v8, off, s[28:31], 0 offset:472 ; 4-byte Folded Spill
	s_nop 0
	buffer_store_dword v9, off, s[28:31], 0 offset:476 ; 4-byte Folded Spill
	buffer_store_dword v10, off, s[28:31], 0 offset:480 ; 4-byte Folded Spill
	;; [unrolled: 1-line block ×4, first 2 shown]
	s_nop 0
	buffer_store_dword v1, off, s[28:31], 0 offset:492 ; 4-byte Folded Spill
	buffer_store_dword v2, off, s[28:31], 0 offset:496 ; 4-byte Folded Spill
	;; [unrolled: 1-line block ×3, first 2 shown]
	s_branch .LBB42_21
.LBB42_19:                              ;   in Loop: Header=BB42_21 Depth=1
	buffer_load_dword v0, off, s[28:31], 0 offset:516 ; 4-byte Folded Reload
	s_add_i32 s4, s4, 1
	s_mul_i32 s6, s4, s20
	s_ashr_i32 s8, s6, 31
	s_lshr_b32 s8, s8, 30
	s_add_i32 s8, s6, s8
	s_ashr_i32 s8, s8, 2
	v_mov_b32_e32 v2, s15
	v_mov_b32_e32 v3, s17
	s_add_i32 s5, s5, s3
	s_waitcnt vmcnt(0)
	v_add_u32_e32 v0, s8, v0
	v_ashrrev_i32_e32 v1, 31, v0
	v_lshlrev_b64 v[0:1], 2, v[0:1]
	v_add_co_u32_e32 v0, vcc, s14, v0
	v_addc_co_u32_e32 v1, vcc, v2, v1, vcc
	global_load_dword v2, v[0:1], off
	s_nop 0
	buffer_load_dword v0, off, s[28:31], 0 offset:508 ; 4-byte Folded Reload
	buffer_load_dword v1, off, s[28:31], 0 offset:512 ; 4-byte Folded Reload
	s_waitcnt vmcnt(2)
	v_and_b32_e32 v4, 0xff, v2
	s_waitcnt vmcnt(1)
	v_add_u32_e32 v0, s6, v0
	s_waitcnt vmcnt(0)
	v_ashrrev_i32_e32 v1, 31, v0
	v_lshlrev_b64 v[0:1], 1, v[0:1]
	v_add_co_u32_e32 v0, vcc, s16, v0
	v_addc_co_u32_e32 v1, vcc, v3, v1, vcc
	global_load_dwordx2 v[0:1], v[0:1], off
	v_bfe_u32 v6, v2, 16, 8
	v_lshrrev_b32_e32 v5, 24, v2
	s_waitcnt vmcnt(0)
	buffer_store_dword v0, off, s[28:31], 0 offset:56 ; 4-byte Folded Spill
	s_nop 0
	buffer_store_dword v1, off, s[28:31], 0 offset:60 ; 4-byte Folded Spill
	v_bfe_u32 v1, v2, 8, 8
.LBB42_20:                              ;   in Loop: Header=BB42_21 Depth=1
	v_mov_b32_e32 v3, v1
	global_load_dwordx4 v[8:11], v[12:13], off
	buffer_load_dword v0, off, s[28:31], 0 offset:504 ; 4-byte Folded Reload
	s_nop 0
	buffer_store_dword v2, off, s[28:31], 0 offset:456 ; 4-byte Folded Spill
	s_nop 0
	buffer_store_dword v3, off, s[28:31], 0 offset:460 ; 4-byte Folded Spill
	buffer_store_dword v4, off, s[28:31], 0 offset:464 ; 4-byte Folded Spill
	;; [unrolled: 1-line block ×3, first 2 shown]
	v_mov_b32_e32 v122, s2
	v_mov_b32_e32 v115, s1
	s_add_i32 s2, s2, 64
	s_add_i32 s24, s24, 32
	s_cmp_ge_i32 s24, s25
	v_mov_b32_e32 v2, v4
	buffer_store_dword v2, off, s[28:31], 0 offset:440 ; 4-byte Folded Spill
	s_nop 0
	buffer_store_dword v3, off, s[28:31], 0 offset:444 ; 4-byte Folded Spill
	buffer_store_dword v4, off, s[28:31], 0 offset:448 ; 4-byte Folded Spill
	;; [unrolled: 1-line block ×3, first 2 shown]
	s_waitcnt vmcnt(8)
	v_add_u32_e32 v103, v1, v0
	v_mov_b32_e32 v3, v5
	v_add_u32_e32 v123, v4, v0
	buffer_store_dword v0, off, s[28:31], 0 offset:488 ; 4-byte Folded Spill
	s_nop 0
	buffer_store_dword v1, off, s[28:31], 0 offset:492 ; 4-byte Folded Spill
	buffer_store_dword v2, off, s[28:31], 0 offset:496 ; 4-byte Folded Spill
	;; [unrolled: 1-line block ×3, first 2 shown]
	v_mov_b32_e32 v2, v6
	v_sub_u32_sdwa v15, v8, v123 dst_sel:DWORD dst_unused:UNUSED_PAD src0_sel:BYTE_1 src1_sel:DWORD
	v_cvt_f32_i32_e32 v15, v15
	v_cvt_f16_f32_e32 v15, v15
	v_cvt_f32_f16_e32 v58, v15
	v_add_u32_e32 v94, v5, v0
	buffer_store_dword v0, off, s[28:31], 0 offset:472 ; 4-byte Folded Spill
	s_nop 0
	buffer_store_dword v1, off, s[28:31], 0 offset:476 ; 4-byte Folded Spill
	buffer_store_dword v2, off, s[28:31], 0 offset:480 ; 4-byte Folded Spill
	;; [unrolled: 1-line block ×3, first 2 shown]
	ds_read_b128 v[2:5], v122 offset:256
	ds_read_b128 v[50:53], v122
	ds_read_b128 v[30:33], v122 offset:512
	ds_read_b128 v[34:37], v122 offset:768
	;; [unrolled: 1-line block ×5, first 2 shown]
	v_sub_u32_sdwa v1, v9, v103 dst_sel:DWORD dst_unused:UNUSED_PAD src0_sel:BYTE_0 src1_sel:DWORD
	v_cvt_f32_i32_e32 v1, v1
	s_waitcnt lgkmcnt(4)
	v_cvt_f32_f16_e32 v14, v30
	s_waitcnt lgkmcnt(3)
	v_cvt_f32_f16_e32 v16, v34
	;; [unrolled: 2-line block ×3, first 2 shown]
	v_cvt_f16_f32_e32 v1, v1
	s_waitcnt lgkmcnt(1)
	v_cvt_f32_f16_e32 v20, v42
	s_waitcnt lgkmcnt(0)
	v_cvt_f32_f16_e32 v22, v46
	v_cvt_f32_f16_sdwa v24, v50 dst_sel:DWORD dst_unused:UNUSED_PAD src0_sel:WORD_1
	v_cvt_f32_f16_e32 v55, v1
	v_cvt_f32_f16_sdwa v26, v30 dst_sel:DWORD dst_unused:UNUSED_PAD src0_sel:WORD_1
	v_cvt_f32_f16_sdwa v28, v34 dst_sel:DWORD dst_unused:UNUSED_PAD src0_sel:WORD_1
	;; [unrolled: 1-line block ×5, first 2 shown]
	v_cvt_f32_f16_e32 v42, v47
	v_cvt_f32_f16_sdwa v46, v47 dst_sel:DWORD dst_unused:UNUSED_PAD src0_sel:WORD_1
	v_add_u32_e32 v95, v6, v0
	v_pk_mov_b32 v[6:7], v[4:5], v[4:5] op_sel:[0,1]
	v_pk_mov_b32 v[4:5], v[2:3], v[2:3] op_sel:[0,1]
	v_mov_b32_e32 v75, v7
	v_sub_u32_sdwa v3, v8, v123 dst_sel:DWORD dst_unused:UNUSED_PAD src0_sel:BYTE_0 src1_sel:DWORD
	v_mov_b32_e32 v74, v6
	v_mov_b32_e32 v73, v5
	v_sub_u32_sdwa v5, v11, v94 dst_sel:DWORD dst_unused:UNUSED_PAD src0_sel:BYTE_0 src1_sel:DWORD
	v_sub_u32_sdwa v6, v10, v95 dst_sel:DWORD dst_unused:UNUSED_PAD src0_sel:BYTE_0 src1_sel:DWORD
	v_sub_u32_sdwa v7, v9, v103 dst_sel:DWORD dst_unused:UNUSED_PAD src0_sel:BYTE_1 src1_sel:DWORD
	v_cvt_f32_i32_e32 v3, v3
	v_cvt_f32_i32_e32 v6, v6
	;; [unrolled: 1-line block ×4, first 2 shown]
	v_cvt_f16_f32_e32 v3, v3
	v_cvt_f16_f32_e32 v6, v6
	;; [unrolled: 1-line block ×4, first 2 shown]
	v_cvt_f32_f16_e32 v0, v50
	v_cvt_f32_f16_e32 v2, v4
	;; [unrolled: 1-line block ×3, first 2 shown]
	v_cvt_f32_f16_sdwa v4, v4 dst_sel:DWORD dst_unused:UNUSED_PAD src0_sel:WORD_1
	v_cvt_f32_f16_e32 v57, v5
	v_cvt_f32_f16_e32 v56, v6
	;; [unrolled: 1-line block ×3, first 2 shown]
	v_pk_fma_f32 v[60:61], v[54:55], v[0:1], 0 op_sel_hi:[1,0,0]
	v_pk_fma_f32 v[62:63], v[54:55], v[2:3], 0 op_sel_hi:[1,0,0]
	v_sub_u32_sdwa v5, v11, v94 dst_sel:DWORD dst_unused:UNUSED_PAD src0_sel:BYTE_1 src1_sel:DWORD
	v_sub_u32_sdwa v6, v10, v95 dst_sel:DWORD dst_unused:UNUSED_PAD src0_sel:BYTE_1 src1_sel:DWORD
	v_pk_fma_f32 v[64:65], v[54:55], v[14:15], 0 op_sel_hi:[1,0,0]
	v_pk_fma_f32 v[66:67], v[54:55], v[16:17], 0 op_sel_hi:[1,0,0]
	;; [unrolled: 1-line block ×14, first 2 shown]
	v_cvt_f32_i32_e32 v5, v5
	v_cvt_f32_i32_e32 v6, v6
	v_pk_fma_f32 v[62:63], v[58:59], v[26:27], v[64:65] op_sel_hi:[1,0,1]
	v_pk_fma_f32 v[64:65], v[58:59], v[28:29], v[66:67] op_sel_hi:[1,0,1]
	v_cvt_f16_f32_e32 v5, v5
	v_cvt_f16_f32_e32 v6, v6
	v_pk_fma_f32 v[66:67], v[58:59], v[30:31], v[68:69] op_sel_hi:[1,0,1]
	v_pk_fma_f32 v[68:69], v[58:59], v[34:35], v[70:71] op_sel_hi:[1,0,1]
	;; [unrolled: 1-line block ×3, first 2 shown]
	v_cvt_f32_f16_e32 v59, v5
	v_cvt_f32_f16_e32 v58, v6
	v_sub_u32_sdwa v5, v9, v103 dst_sel:DWORD dst_unused:UNUSED_PAD src0_sel:BYTE_2 src1_sel:DWORD
	v_sub_u32_sdwa v6, v8, v123 dst_sel:DWORD dst_unused:UNUSED_PAD src0_sel:BYTE_2 src1_sel:DWORD
	v_cvt_f32_i32_e32 v5, v5
	v_pk_fma_f32 v[14:15], v[58:59], v[26:27], v[14:15] op_sel_hi:[1,0,1]
	v_cvt_f32_f16_e32 v26, v73
	buffer_store_dword v72, off, s[28:31], 0 offset:72 ; 4-byte Folded Spill
	s_nop 0
	buffer_store_dword v73, off, s[28:31], 0 offset:76 ; 4-byte Folded Spill
	buffer_store_dword v74, off, s[28:31], 0 offset:80 ; 4-byte Folded Spill
	;; [unrolled: 1-line block ×3, first 2 shown]
	v_cvt_f32_i32_e32 v6, v6
	v_cvt_f16_f32_e32 v5, v5
	v_pk_fma_f32 v[0:1], v[58:59], v[24:25], v[0:1] op_sel_hi:[1,0,1]
	v_pk_fma_f32 v[16:17], v[58:59], v[28:29], v[16:17] op_sel_hi:[1,0,1]
	v_cvt_f16_f32_e32 v6, v6
	v_pk_fma_f32 v[2:3], v[58:59], v[4:5], v[2:3] op_sel_hi:[1,0,1]
	v_cvt_f32_f16_e32 v4, v51
	v_cvt_f32_f16_e32 v25, v5
	;; [unrolled: 1-line block ×3, first 2 shown]
	v_sub_u32_sdwa v6, v10, v95 dst_sel:DWORD dst_unused:UNUSED_PAD src0_sel:BYTE_2 src1_sel:DWORD
	v_cvt_f32_i32_e32 v6, v6
	v_pk_fma_f32 v[18:19], v[58:59], v[30:31], v[18:19] op_sel_hi:[1,0,1]
	v_pk_fma_f32 v[56:57], v[24:25], v[4:5], v[56:57] op_sel_hi:[1,0,1]
	v_sub_u32_sdwa v5, v11, v94 dst_sel:DWORD dst_unused:UNUSED_PAD src0_sel:BYTE_2 src1_sel:DWORD
	v_cvt_f32_i32_e32 v5, v5
	v_pk_fma_f32 v[20:21], v[58:59], v[34:35], v[20:21] op_sel_hi:[1,0,1]
	v_cvt_f32_f16_e32 v28, v31
	v_pk_fma_f32 v[22:23], v[58:59], v[38:39], v[22:23] op_sel_hi:[1,0,1]
	v_cvt_f32_f16_e32 v30, v35
	v_cvt_f32_f16_e32 v34, v39
	;; [unrolled: 1-line block ×3, first 2 shown]
	v_cvt_f16_f32_e32 v5, v5
	v_cvt_f16_f32_e32 v6, v6
	v_pk_fma_f32 v[58:59], v[24:25], v[26:27], v[60:61] op_sel_hi:[1,0,1]
	v_pk_fma_f32 v[60:61], v[24:25], v[28:29], v[62:63] op_sel_hi:[1,0,1]
	;; [unrolled: 1-line block ×6, first 2 shown]
	v_cvt_f32_f16_e32 v55, v5
	v_cvt_f32_f16_e32 v54, v6
	v_sub_u32_sdwa v6, v10, v95 dst_sel:DWORD dst_unused:UNUSED_PAD src0_sel:BYTE_3 src1_sel:DWORD
	v_cvt_f32_i32_e32 v6, v6
	v_cvt_f32_f16_e32 v68, v32
	v_pk_fma_f32 v[0:1], v[54:55], v[4:5], v[0:1] op_sel_hi:[1,0,1]
	v_sub_u32_sdwa v4, v9, v103 dst_sel:DWORD dst_unused:UNUSED_PAD src0_sel:BYTE_3 src1_sel:DWORD
	v_sub_u32_sdwa v5, v8, v123 dst_sel:DWORD dst_unused:UNUSED_PAD src0_sel:BYTE_3 src1_sel:DWORD
	v_cvt_f32_i32_e32 v4, v4
	v_cvt_f32_i32_e32 v5, v5
	v_pk_fma_f32 v[8:9], v[54:55], v[28:29], v[14:15] op_sel_hi:[1,0,1]
	v_pk_fma_f32 v[14:15], v[54:55], v[30:31], v[16:17] op_sel_hi:[1,0,1]
	v_cvt_f16_f32_e32 v4, v4
	v_cvt_f16_f32_e32 v5, v5
	v_pk_fma_f32 v[16:17], v[54:55], v[34:35], v[18:19] op_sel_hi:[1,0,1]
	v_pk_fma_f32 v[18:19], v[54:55], v[38:39], v[20:21] op_sel_hi:[1,0,1]
	v_cvt_f32_f16_e32 v21, v4
	v_cvt_f32_f16_e32 v20, v5
	v_cvt_f32_f16_sdwa v4, v51 dst_sel:DWORD dst_unused:UNUSED_PAD src0_sel:WORD_1
	v_cvt_f32_f16_sdwa v34, v39 dst_sel:DWORD dst_unused:UNUSED_PAD src0_sel:WORD_1
	v_pk_fma_f32 v[2:3], v[54:55], v[26:27], v[2:3] op_sel_hi:[1,0,1]
	v_cvt_f32_f16_sdwa v28, v31 dst_sel:DWORD dst_unused:UNUSED_PAD src0_sel:WORD_1
	v_sub_u32_sdwa v5, v11, v94 dst_sel:DWORD dst_unused:UNUSED_PAD src0_sel:BYTE_3 src1_sel:DWORD
	v_pk_fma_f32 v[10:11], v[20:21], v[4:5], v[56:57] op_sel_hi:[1,0,1]
	v_pk_fma_f32 v[56:57], v[20:21], v[34:35], v[64:65] op_sel_hi:[1,0,1]
	v_add_co_u32_e32 v64, vcc, s0, v12
	v_addc_co_u32_e32 v65, vcc, v13, v115, vcc
	v_pk_fma_f32 v[50:51], v[20:21], v[28:29], v[60:61] op_sel_hi:[1,0,1]
	v_cvt_f32_i32_e32 v5, v5
	v_pk_fma_f32 v[22:23], v[54:55], v[42:43], v[22:23] op_sel_hi:[1,0,1]
	v_cvt_f32_f16_sdwa v30, v35 dst_sel:DWORD dst_unused:UNUSED_PAD src0_sel:WORD_1
	v_cvt_f32_f16_sdwa v42, v43 dst_sel:DWORD dst_unused:UNUSED_PAD src0_sel:WORD_1
	v_cvt_f16_f32_e32 v5, v5
	v_cvt_f16_f32_e32 v6, v6
	v_pk_fma_f32 v[54:55], v[20:21], v[30:31], v[62:63] op_sel_hi:[1,0,1]
	v_pk_fma_f32 v[62:63], v[20:21], v[42:43], v[66:67] op_sel_hi:[1,0,1]
	v_cvt_f32_f16_e32 v70, v36
	v_add_co_u32_e32 v66, vcc, s0, v64
	v_addc_co_u32_e32 v67, vcc, v65, v115, vcc
	v_add_co_u32_e32 v120, vcc, s0, v66
	v_addc_co_u32_e32 v121, vcc, v67, v115, vcc
	v_cvt_f32_f16_sdwa v26, v73 dst_sel:DWORD dst_unused:UNUSED_PAD src0_sel:WORD_1
	v_cvt_f32_f16_sdwa v32, v32 dst_sel:DWORD dst_unused:UNUSED_PAD src0_sel:WORD_1
	;; [unrolled: 1-line block ×3, first 2 shown]
	v_pk_fma_f32 v[38:39], v[20:21], v[26:27], v[58:59] op_sel_hi:[1,0,1]
	global_load_dwordx4 v[58:61], v[64:65], off
	v_pk_fma_f32 v[20:21], v[20:21], v[46:47], v[24:25] op_sel_hi:[1,0,1]
	v_cvt_f32_f16_e32 v25, v5
	v_cvt_f32_f16_e32 v24, v6
	v_pk_fma_f32 v[4:5], v[24:25], v[4:5], v[0:1] op_sel_hi:[1,0,1]
	v_pk_fma_f32 v[8:9], v[24:25], v[28:29], v[8:9] op_sel_hi:[1,0,1]
	;; [unrolled: 1-line block ×5, first 2 shown]
	v_cvt_f32_f16_e32 v18, v40
	v_cvt_f32_f16_e32 v14, v48
	v_pk_fma_f32 v[12:13], v[24:25], v[46:47], v[22:23] op_sel_hi:[1,0,1]
	v_cvt_f32_f16_e32 v22, v52
	v_cvt_f32_f16_sdwa v40, v40 dst_sel:DWORD dst_unused:UNUSED_PAD src0_sel:WORD_1
	s_waitcnt vmcnt(0)
	v_sub_u32_sdwa v0, v59, v103 dst_sel:DWORD dst_unused:UNUSED_PAD src0_sel:BYTE_0 src1_sel:DWORD
	v_sub_u32_sdwa v1, v58, v123 dst_sel:DWORD dst_unused:UNUSED_PAD src0_sel:BYTE_0 src1_sel:DWORD
	v_cvt_f32_i32_e32 v0, v0
	v_cvt_f32_i32_e32 v1, v1
	v_cvt_f16_f32_e32 v6, v0
	v_cvt_f16_f32_e32 v7, v1
	v_pk_fma_f32 v[0:1], v[24:25], v[34:35], v[16:17] op_sel_hi:[1,0,1]
	v_cvt_f32_f16_e32 v34, v74
	v_cvt_f32_f16_e32 v31, v6
	;; [unrolled: 1-line block ×4, first 2 shown]
	v_cvt_f32_f16_sdwa v44, v44 dst_sel:DWORD dst_unused:UNUSED_PAD src0_sel:WORD_1
	v_pk_fma_f32 v[6:7], v[30:31], v[34:35], v[38:39] op_sel_hi:[1,0,1]
	buffer_store_dword v6, off, s[28:31], 0 offset:96 ; 4-byte Folded Spill
	s_nop 0
	buffer_store_dword v7, off, s[28:31], 0 offset:100 ; 4-byte Folded Spill
	v_pk_fma_f32 v[6:7], v[30:31], v[68:69], v[50:51] op_sel_hi:[1,0,1]
	buffer_store_dword v6, off, s[28:31], 0 offset:88 ; 4-byte Folded Spill
	s_nop 0
	buffer_store_dword v7, off, s[28:31], 0 offset:92 ; 4-byte Folded Spill
	;; [unrolled: 4-line block ×6, first 2 shown]
	v_sub_u32_sdwa v6, v61, v94 dst_sel:DWORD dst_unused:UNUSED_PAD src0_sel:BYTE_0 src1_sel:DWORD
	v_sub_u32_sdwa v7, v60, v95 dst_sel:DWORD dst_unused:UNUSED_PAD src0_sel:BYTE_0 src1_sel:DWORD
	v_cvt_f32_i32_e32 v6, v6
	v_cvt_f32_i32_e32 v7, v7
	v_pk_fma_f32 v[50:51], v[30:31], v[22:23], v[10:11] op_sel_hi:[1,0,1]
	v_cvt_f16_f32_e32 v6, v6
	v_cvt_f16_f32_e32 v7, v7
	v_cvt_f32_f16_e32 v21, v6
	v_cvt_f32_f16_e32 v20, v7
	v_pk_fma_f32 v[22:23], v[20:21], v[22:23], v[4:5] op_sel_hi:[1,0,1]
	v_pk_fma_f32 v[4:5], v[20:21], v[34:35], v[26:27] op_sel_hi:[1,0,1]
	buffer_store_dword v4, off, s[28:31], 0 offset:120 ; 4-byte Folded Spill
	s_nop 0
	buffer_store_dword v5, off, s[28:31], 0 offset:124 ; 4-byte Folded Spill
	global_load_dwordx4 v[62:65], v[66:67], off
	v_pk_fma_f32 v[4:5], v[20:21], v[68:69], v[8:9] op_sel_hi:[1,0,1]
	v_pk_fma_f32 v[42:43], v[20:21], v[18:19], v[0:1] op_sel_hi:[1,0,1]
	v_pk_fma_f32 v[18:19], v[20:21], v[16:17], v[2:3] op_sel_hi:[1,0,1]
	buffer_store_dword v4, off, s[28:31], 0 offset:128 ; 4-byte Folded Spill
	s_nop 0
	buffer_store_dword v5, off, s[28:31], 0 offset:132 ; 4-byte Folded Spill
	v_pk_fma_f32 v[4:5], v[20:21], v[70:71], v[28:29] op_sel_hi:[1,0,1]
	buffer_store_dword v4, off, s[28:31], 0 offset:136 ; 4-byte Folded Spill
	s_nop 0
	buffer_store_dword v5, off, s[28:31], 0 offset:140 ; 4-byte Folded Spill
	ds_read_b128 v[6:9], v122 offset:16
	ds_read_b128 v[124:127], v122 offset:784
	v_pk_fma_f32 v[38:39], v[20:21], v[14:15], v[12:13] op_sel_hi:[1,0,1]
	s_waitcnt lgkmcnt(0)
	v_cvt_f32_f16_e32 v80, v124
	s_waitcnt vmcnt(4)
	v_sub_u32_sdwa v2, v63, v103 dst_sel:DWORD dst_unused:UNUSED_PAD src0_sel:BYTE_1 src1_sel:DWORD
	v_sub_u32_sdwa v3, v62, v123 dst_sel:DWORD dst_unused:UNUSED_PAD src0_sel:BYTE_1 src1_sel:DWORD
	v_cvt_f32_i32_e32 v2, v2
	v_cvt_f32_i32_e32 v3, v3
	v_sub_u32_sdwa v0, v63, v103 dst_sel:DWORD dst_unused:UNUSED_PAD src0_sel:BYTE_0 src1_sel:DWORD
	v_sub_u32_sdwa v1, v62, v123 dst_sel:DWORD dst_unused:UNUSED_PAD src0_sel:BYTE_0 src1_sel:DWORD
	v_cvt_f32_i32_e32 v0, v0
	v_cvt_f32_i32_e32 v1, v1
	v_cvt_f16_f32_e32 v4, v2
	v_cvt_f16_f32_e32 v5, v3
	;; [unrolled: 1-line block ×4, first 2 shown]
	v_cvt_f32_f16_e32 v69, v4
	v_cvt_f32_f16_e32 v68, v5
	v_pk_mov_b32 v[4:5], v[6:7], v[6:7] op_sel:[0,1]
	v_pk_mov_b32 v[6:7], v[8:9], v[8:9] op_sel:[0,1]
	v_mov_b32_e32 v11, v7
	v_cvt_f32_f16_e32 v3, v0
	v_cvt_f32_f16_e32 v2, v1
	;; [unrolled: 1-line block ×3, first 2 shown]
	v_cvt_f32_f16_sdwa v8, v4 dst_sel:DWORD dst_unused:UNUSED_PAD src0_sel:WORD_1
	v_mov_b32_e32 v10, v6
	v_mov_b32_e32 v9, v5
	ds_read_b128 v[4:7], v122 offset:272
	v_pk_fma_f32 v[12:13], v[2:3], v[46:47], 0 op_sel_hi:[1,0,0]
	v_pk_fma_f32 v[70:71], v[68:69], v[8:9], v[12:13] op_sel_hi:[1,0,1]
	;; [unrolled: 1-line block ×3, first 2 shown]
	v_sub_u32_sdwa v0, v65, v94 dst_sel:DWORD dst_unused:UNUSED_PAD src0_sel:BYTE_0 src1_sel:DWORD
	s_waitcnt lgkmcnt(0)
	v_mov_b32_e32 v15, v7
	v_cvt_f32_f16_e32 v72, v4
	v_cvt_f32_f16_sdwa v12, v4 dst_sel:DWORD dst_unused:UNUSED_PAD src0_sel:WORD_1
	v_mov_b32_e32 v14, v6
	v_mov_b32_e32 v13, v5
	ds_read_b128 v[4:7], v122 offset:528
	v_pk_fma_f32 v[16:17], v[2:3], v[72:73], 0 op_sel_hi:[1,0,0]
	v_pk_fma_f32 v[74:75], v[68:69], v[12:13], v[16:17] op_sel_hi:[1,0,1]
	v_sub_u32_sdwa v1, v64, v95 dst_sel:DWORD dst_unused:UNUSED_PAD src0_sel:BYTE_0 src1_sel:DWORD
	v_cvt_f32_i32_e32 v0, v0
	s_waitcnt lgkmcnt(0)
	v_cvt_f32_f16_e32 v76, v4
	v_cvt_f32_f16_sdwa v16, v4 dst_sel:DWORD dst_unused:UNUSED_PAD src0_sel:WORD_1
	v_cvt_f32_i32_e32 v1, v1
	v_cvt_f16_f32_e32 v0, v0
	v_pk_fma_f32 v[20:21], v[2:3], v[76:77], 0 op_sel_hi:[1,0,0]
	v_pk_fma_f32 v[78:79], v[68:69], v[16:17], v[20:21] op_sel_hi:[1,0,1]
	v_cvt_f32_f16_sdwa v20, v124 dst_sel:DWORD dst_unused:UNUSED_PAD src0_sel:WORD_1
	v_cvt_f16_f32_e32 v1, v1
	v_sub_u32_sdwa v4, v65, v94 dst_sel:DWORD dst_unused:UNUSED_PAD src0_sel:BYTE_3 src1_sel:DWORD
	v_add_co_u32_e32 v124, vcc, s0, v120
	v_pk_fma_f32 v[82:83], v[68:69], v[20:21], v[24:25] op_sel_hi:[1,0,1]
	ds_read_b128 v[24:27], v122 offset:1040
	s_waitcnt lgkmcnt(0)
	v_cvt_f32_f16_e32 v84, v24
	v_cvt_f32_f16_sdwa v24, v24 dst_sel:DWORD dst_unused:UNUSED_PAD src0_sel:WORD_1
	v_pk_fma_f32 v[28:29], v[2:3], v[84:85], 0 op_sel_hi:[1,0,0]
	v_pk_fma_f32 v[86:87], v[68:69], v[24:25], v[28:29] op_sel_hi:[1,0,1]
	ds_read_b128 v[28:31], v122 offset:1296
	s_waitcnt lgkmcnt(0)
	v_cvt_f32_f16_e32 v88, v28
	v_cvt_f32_f16_sdwa v28, v28 dst_sel:DWORD dst_unused:UNUSED_PAD src0_sel:WORD_1
	v_pk_fma_f32 v[54:55], v[2:3], v[88:89], 0 op_sel_hi:[1,0,0]
	;; [unrolled: 6-line block ×3, first 2 shown]
	v_pk_fma_f32 v[2:3], v[68:69], v[54:55], v[2:3] op_sel_hi:[1,0,1]
	v_cvt_f32_f16_e32 v69, v0
	v_cvt_f32_f16_e32 v68, v1
	v_sub_u32_sdwa v0, v65, v94 dst_sel:DWORD dst_unused:UNUSED_PAD src0_sel:BYTE_1 src1_sel:DWORD
	v_sub_u32_sdwa v1, v64, v95 dst_sel:DWORD dst_unused:UNUSED_PAD src0_sel:BYTE_1 src1_sel:DWORD
	v_cvt_f32_i32_e32 v0, v0
	v_cvt_f32_i32_e32 v1, v1
	v_pk_fma_f32 v[98:99], v[68:69], v[46:47], 0 op_sel_hi:[1,0,0]
	v_pk_fma_f32 v[72:73], v[68:69], v[72:73], 0 op_sel_hi:[1,0,0]
	v_cvt_f16_f32_e32 v0, v0
	v_cvt_f16_f32_e32 v1, v1
	v_pk_fma_f32 v[76:77], v[68:69], v[76:77], 0 op_sel_hi:[1,0,0]
	v_pk_fma_f32 v[80:81], v[68:69], v[80:81], 0 op_sel_hi:[1,0,0]
	v_cvt_f32_f16_e32 v97, v0
	v_cvt_f32_f16_e32 v96, v1
	v_sub_u32_sdwa v0, v63, v103 dst_sel:DWORD dst_unused:UNUSED_PAD src0_sel:BYTE_2 src1_sel:DWORD
	v_sub_u32_sdwa v1, v62, v123 dst_sel:DWORD dst_unused:UNUSED_PAD src0_sel:BYTE_2 src1_sel:DWORD
	v_cvt_f32_i32_e32 v0, v0
	v_pk_fma_f32 v[98:99], v[96:97], v[8:9], v[98:99] op_sel_hi:[1,0,1]
	v_pk_fma_f32 v[72:73], v[96:97], v[12:13], v[72:73] op_sel_hi:[1,0,1]
	buffer_store_dword v8, off, s[28:31], 0 offset:328 ; 4-byte Folded Spill
	s_nop 0
	buffer_store_dword v9, off, s[28:31], 0 offset:332 ; 4-byte Folded Spill
	buffer_store_dword v10, off, s[28:31], 0 offset:336 ; 4-byte Folded Spill
	;; [unrolled: 1-line block ×4, first 2 shown]
	s_nop 0
	buffer_store_dword v13, off, s[28:31], 0 offset:276 ; 4-byte Folded Spill
	buffer_store_dword v14, off, s[28:31], 0 offset:280 ; 4-byte Folded Spill
	;; [unrolled: 1-line block ×3, first 2 shown]
	v_pk_fma_f32 v[76:77], v[96:97], v[16:17], v[76:77] op_sel_hi:[1,0,1]
	v_mov_b32_e32 v17, v7
	v_mov_b32_e32 v16, v6
	;; [unrolled: 1-line block ×3, first 2 shown]
	v_cvt_f32_i32_e32 v1, v1
	v_cvt_f16_f32_e32 v0, v0
	buffer_store_dword v14, off, s[28:31], 0 offset:288 ; 4-byte Folded Spill
	s_nop 0
	buffer_store_dword v15, off, s[28:31], 0 offset:292 ; 4-byte Folded Spill
	buffer_store_dword v16, off, s[28:31], 0 offset:296 ; 4-byte Folded Spill
	;; [unrolled: 1-line block ×3, first 2 shown]
	v_cvt_f16_f32_e32 v1, v1
	v_pk_fma_f32 v[84:85], v[68:69], v[84:85], 0 op_sel_hi:[1,0,0]
	v_pk_fma_f32 v[88:89], v[68:69], v[88:89], 0 op_sel_hi:[1,0,0]
	;; [unrolled: 1-line block ×3, first 2 shown]
	v_cvt_f32_f16_e32 v93, v0
	v_cvt_f32_f16_e32 v92, v1
	v_sub_u32_sdwa v0, v65, v94 dst_sel:DWORD dst_unused:UNUSED_PAD src0_sel:BYTE_2 src1_sel:DWORD
	v_sub_u32_sdwa v1, v64, v95 dst_sel:DWORD dst_unused:UNUSED_PAD src0_sel:BYTE_2 src1_sel:DWORD
	v_cvt_f32_i32_e32 v0, v0
	v_cvt_f32_i32_e32 v1, v1
	v_pk_fma_f32 v[80:81], v[96:97], v[20:21], v[80:81] op_sel_hi:[1,0,1]
	v_pk_fma_f32 v[84:85], v[96:97], v[24:25], v[84:85] op_sel_hi:[1,0,1]
	;; [unrolled: 1-line block ×3, first 2 shown]
	v_cvt_f32_f16_e32 v8, v9
	v_cvt_f32_f16_e32 v12, v13
	;; [unrolled: 1-line block ×6, first 2 shown]
	v_cvt_f16_f32_e32 v0, v0
	v_cvt_f16_f32_e32 v1, v1
	v_pk_fma_f32 v[70:71], v[92:93], v[8:9], v[70:71] op_sel_hi:[1,0,1]
	v_pk_fma_f32 v[74:75], v[92:93], v[12:13], v[74:75] op_sel_hi:[1,0,1]
	;; [unrolled: 1-line block ×7, first 2 shown]
	v_cvt_f32_f16_sdwa v54, v25 dst_sel:DWORD dst_unused:UNUSED_PAD src0_sel:WORD_1
	v_sub_u32_sdwa v5, v64, v95 dst_sel:DWORD dst_unused:UNUSED_PAD src0_sel:BYTE_3 src1_sel:DWORD
	v_cvt_f32_f16_sdwa v64, v29 dst_sel:DWORD dst_unused:UNUSED_PAD src0_sel:WORD_1
	v_cvt_f32_f16_e32 v16, v15
	v_pk_fma_f32 v[78:79], v[92:93], v[16:17], v[78:79] op_sel_hi:[1,0,1]
	v_cvt_f32_f16_e32 v93, v0
	v_cvt_f32_f16_e32 v92, v1
	v_sub_u32_sdwa v0, v63, v103 dst_sel:DWORD dst_unused:UNUSED_PAD src0_sel:BYTE_3 src1_sel:DWORD
	v_sub_u32_sdwa v1, v62, v123 dst_sel:DWORD dst_unused:UNUSED_PAD src0_sel:BYTE_3 src1_sel:DWORD
	v_cvt_f32_i32_e32 v0, v0
	v_cvt_f32_i32_e32 v1, v1
	v_pk_fma_f32 v[76:77], v[92:93], v[16:17], v[76:77] op_sel_hi:[1,0,1]
	v_cvt_f32_f16_sdwa v16, v13 dst_sel:DWORD dst_unused:UNUSED_PAD src0_sel:WORD_1
	v_cvt_f16_f32_e32 v0, v0
	v_cvt_f16_f32_e32 v1, v1
	v_pk_fma_f32 v[80:81], v[92:93], v[20:21], v[80:81] op_sel_hi:[1,0,1]
	v_cvt_f32_f16_sdwa v20, v15 dst_sel:DWORD dst_unused:UNUSED_PAD src0_sel:WORD_1
	v_cvt_f32_f16_e32 v63, v0
	v_cvt_f32_f16_e32 v62, v1
	v_pk_fma_f32 v[68:69], v[92:93], v[46:47], v[68:69] op_sel_hi:[1,0,1]
	v_cvt_f32_f16_sdwa v46, v125 dst_sel:DWORD dst_unused:UNUSED_PAD src0_sel:WORD_1
	v_pk_fma_f32 v[96:97], v[92:93], v[8:9], v[98:99] op_sel_hi:[1,0,1]
	v_pk_fma_f32 v[0:1], v[62:63], v[16:17], v[74:75] op_sel_hi:[1,0,1]
	buffer_store_dword v0, off, s[28:31], 0 offset:184 ; 4-byte Folded Spill
	s_nop 0
	buffer_store_dword v1, off, s[28:31], 0 offset:188 ; 4-byte Folded Spill
	v_pk_fma_f32 v[0:1], v[62:63], v[20:21], v[78:79] op_sel_hi:[1,0,1]
	buffer_store_dword v0, off, s[28:31], 0 offset:192 ; 4-byte Folded Spill
	s_nop 0
	buffer_store_dword v1, off, s[28:31], 0 offset:196 ; 4-byte Folded Spill
	;; [unrolled: 4-line block ×3, first 2 shown]
	v_pk_fma_f32 v[0:1], v[62:63], v[54:55], v[86:87] op_sel_hi:[1,0,1]
	v_cvt_f32_f16_sdwa v74, v55 dst_sel:DWORD dst_unused:UNUSED_PAD src0_sel:WORD_1
	buffer_store_dword v0, off, s[28:31], 0 offset:208 ; 4-byte Folded Spill
	s_nop 0
	buffer_store_dword v1, off, s[28:31], 0 offset:212 ; 4-byte Folded Spill
	v_pk_fma_f32 v[0:1], v[62:63], v[64:65], v[90:91] op_sel_hi:[1,0,1]
	buffer_store_dword v0, off, s[28:31], 0 offset:216 ; 4-byte Folded Spill
	s_nop 0
	buffer_store_dword v1, off, s[28:31], 0 offset:220 ; 4-byte Folded Spill
	v_pk_fma_f32 v[0:1], v[62:63], v[74:75], v[2:3] op_sel_hi:[1,0,1]
	v_cvt_f32_f16_sdwa v2, v9 dst_sel:DWORD dst_unused:UNUSED_PAD src0_sel:WORD_1
	buffer_store_dword v0, off, s[28:31], 0 offset:312 ; 4-byte Folded Spill
	s_nop 0
	buffer_store_dword v1, off, s[28:31], 0 offset:316 ; 4-byte Folded Spill
	v_pk_fma_f32 v[72:73], v[92:93], v[12:13], v[72:73] op_sel_hi:[1,0,1]
	v_pk_fma_f32 v[84:85], v[92:93], v[24:25], v[84:85] op_sel_hi:[1,0,1]
	;; [unrolled: 1-line block ×3, first 2 shown]
	buffer_store_dword v0, off, s[28:31], 0 offset:320 ; 4-byte Folded Spill
	s_nop 0
	buffer_store_dword v1, off, s[28:31], 0 offset:324 ; 4-byte Folded Spill
	v_cvt_f32_i32_e32 v0, v4
	v_cvt_f32_i32_e32 v1, v5
	v_pk_fma_f32 v[88:89], v[92:93], v[28:29], v[88:89] op_sel_hi:[1,0,1]
	v_addc_co_u32_e32 v125, vcc, v121, v115, vcc
	v_cvt_f16_f32_e32 v0, v0
	v_cvt_f16_f32_e32 v1, v1
	v_cvt_f32_f16_e32 v63, v0
	v_cvt_f32_f16_e32 v62, v1
	v_pk_fma_f32 v[0:1], v[62:63], v[2:3], v[96:97] op_sel_hi:[1,0,1]
	buffer_store_dword v0, off, s[28:31], 0 offset:224 ; 4-byte Folded Spill
	s_nop 0
	buffer_store_dword v1, off, s[28:31], 0 offset:228 ; 4-byte Folded Spill
	v_pk_fma_f32 v[0:1], v[62:63], v[16:17], v[72:73] op_sel_hi:[1,0,1]
	buffer_store_dword v0, off, s[28:31], 0 offset:232 ; 4-byte Folded Spill
	s_nop 0
	buffer_store_dword v1, off, s[28:31], 0 offset:236 ; 4-byte Folded Spill
	;; [unrolled: 4-line block ×7, first 2 shown]
	global_load_dwordx4 v[90:93], v[124:125], off
	ds_read_b128 v[62:65], v122 offset:32
	s_waitcnt lgkmcnt(0)
	v_cvt_f32_f16_e32 v46, v62
	v_cvt_f32_f16_sdwa v62, v62 dst_sel:DWORD dst_unused:UNUSED_PAD src0_sel:WORD_1
	s_waitcnt vmcnt(0)
	v_sub_u32_sdwa v0, v91, v103 dst_sel:DWORD dst_unused:UNUSED_PAD src0_sel:BYTE_0 src1_sel:DWORD
	v_sub_u32_sdwa v1, v90, v123 dst_sel:DWORD dst_unused:UNUSED_PAD src0_sel:BYTE_0 src1_sel:DWORD
	v_cvt_f32_i32_e32 v0, v0
	v_cvt_f32_i32_e32 v1, v1
	v_cvt_f16_f32_e32 v0, v0
	v_cvt_f16_f32_e32 v1, v1
	v_cvt_f32_f16_e32 v3, v0
	v_cvt_f32_f16_e32 v2, v1
	v_sub_u32_sdwa v0, v91, v103 dst_sel:DWORD dst_unused:UNUSED_PAD src0_sel:BYTE_1 src1_sel:DWORD
	v_sub_u32_sdwa v1, v90, v123 dst_sel:DWORD dst_unused:UNUSED_PAD src0_sel:BYTE_1 src1_sel:DWORD
	v_cvt_f32_i32_e32 v0, v0
	v_cvt_f32_i32_e32 v1, v1
	v_pk_fma_f32 v[66:67], v[2:3], v[46:47], 0 op_sel_hi:[1,0,0]
	v_cvt_f16_f32_e32 v0, v0
	v_cvt_f16_f32_e32 v1, v1
	v_cvt_f32_f16_e32 v55, v0
	v_cvt_f32_f16_e32 v54, v1
	v_sub_u32_sdwa v0, v93, v94 dst_sel:DWORD dst_unused:UNUSED_PAD src0_sel:BYTE_0 src1_sel:DWORD
	v_sub_u32_sdwa v1, v92, v95 dst_sel:DWORD dst_unused:UNUSED_PAD src0_sel:BYTE_0 src1_sel:DWORD
	v_cvt_f32_i32_e32 v0, v0
	v_pk_fma_f32 v[98:99], v[54:55], v[62:63], v[66:67] op_sel_hi:[1,0,1]
	ds_read_b128 v[66:69], v122 offset:288
	v_cvt_f32_i32_e32 v1, v1
	v_cvt_f16_f32_e32 v0, v0
	s_waitcnt lgkmcnt(0)
	v_cvt_f32_f16_e32 v96, v66
	v_cvt_f32_f16_sdwa v66, v66 dst_sel:DWORD dst_unused:UNUSED_PAD src0_sel:WORD_1
	v_cvt_f16_f32_e32 v1, v1
	v_pk_fma_f32 v[70:71], v[2:3], v[96:97], 0 op_sel_hi:[1,0,0]
	v_pk_fma_f32 v[100:101], v[54:55], v[66:67], v[70:71] op_sel_hi:[1,0,1]
	ds_read_b128 v[70:73], v122 offset:544
	s_waitcnt lgkmcnt(0)
	v_cvt_f32_f16_e32 v102, v70
	v_cvt_f32_f16_sdwa v70, v70 dst_sel:DWORD dst_unused:UNUSED_PAD src0_sel:WORD_1
	v_pk_fma_f32 v[74:75], v[2:3], v[102:103], 0 op_sel_hi:[1,0,0]
	v_pk_fma_f32 v[104:105], v[54:55], v[70:71], v[74:75] op_sel_hi:[1,0,1]
	ds_read_b128 v[74:77], v122 offset:800
	s_waitcnt lgkmcnt(0)
	v_cvt_f32_f16_e32 v106, v74
	v_cvt_f32_f16_sdwa v74, v74 dst_sel:DWORD dst_unused:UNUSED_PAD src0_sel:WORD_1
	;; [unrolled: 6-line block ×5, first 2 shown]
	v_pk_fma_f32 v[2:3], v[2:3], v[116:117], 0 op_sel_hi:[1,0,0]
	v_pk_fma_f32 v[12:13], v[54:55], v[86:87], v[2:3] op_sel_hi:[1,0,1]
	v_cvt_f32_f16_e32 v3, v0
	v_cvt_f32_f16_e32 v2, v1
	v_sub_u32_sdwa v0, v93, v94 dst_sel:DWORD dst_unused:UNUSED_PAD src0_sel:BYTE_1 src1_sel:DWORD
	v_sub_u32_sdwa v1, v92, v95 dst_sel:DWORD dst_unused:UNUSED_PAD src0_sel:BYTE_1 src1_sel:DWORD
	v_cvt_f32_i32_e32 v0, v0
	v_cvt_f32_i32_e32 v1, v1
	v_pk_fma_f32 v[8:9], v[2:3], v[106:107], 0 op_sel_hi:[1,0,0]
	v_pk_fma_f32 v[96:97], v[2:3], v[96:97], 0 op_sel_hi:[1,0,0]
	v_cvt_f16_f32_e32 v0, v0
	v_cvt_f16_f32_e32 v1, v1
	v_pk_fma_f32 v[20:21], v[2:3], v[46:47], 0 op_sel_hi:[1,0,0]
	v_cvt_f32_f16_e32 v46, v67
	v_cvt_f32_f16_e32 v55, v0
	;; [unrolled: 1-line block ×3, first 2 shown]
	v_pk_fma_f32 v[4:5], v[54:55], v[74:75], v[8:9] op_sel_hi:[1,0,1]
	v_pk_fma_f32 v[8:9], v[2:3], v[110:111], 0 op_sel_hi:[1,0,0]
	;; [unrolled: 1-line block ×8, first 2 shown]
	v_sub_u32_sdwa v2, v91, v103 dst_sel:DWORD dst_unused:UNUSED_PAD src0_sel:BYTE_2 src1_sel:DWORD
	v_sub_u32_sdwa v3, v90, v123 dst_sel:DWORD dst_unused:UNUSED_PAD src0_sel:BYTE_2 src1_sel:DWORD
	v_cvt_f32_i32_e32 v2, v2
	v_cvt_f32_i32_e32 v3, v3
	v_pk_fma_f32 v[106:107], v[54:55], v[82:83], v[8:9] op_sel_hi:[1,0,1]
	v_pk_fma_f32 v[20:21], v[54:55], v[62:63], v[20:21] op_sel_hi:[1,0,1]
	v_cvt_f16_f32_e32 v2, v2
	v_cvt_f16_f32_e32 v8, v3
	v_pk_fma_f32 v[6:7], v[54:55], v[70:71], v[96:97] op_sel_hi:[1,0,1]
	v_cvt_f32_f16_e32 v62, v71
	v_cvt_f32_f16_e32 v3, v2
	;; [unrolled: 1-line block ×8, first 2 shown]
	v_pk_fma_f32 v[8:9], v[2:3], v[46:47], v[100:101] op_sel_hi:[1,0,1]
	v_pk_fma_f32 v[54:55], v[2:3], v[62:63], v[104:105] op_sel_hi:[1,0,1]
	;; [unrolled: 1-line block ×7, first 2 shown]
	v_sub_u32_sdwa v2, v93, v94 dst_sel:DWORD dst_unused:UNUSED_PAD src0_sel:BYTE_2 src1_sel:DWORD
	v_sub_u32_sdwa v3, v92, v95 dst_sel:DWORD dst_unused:UNUSED_PAD src0_sel:BYTE_2 src1_sel:DWORD
	v_cvt_f32_i32_e32 v2, v2
	v_cvt_f32_i32_e32 v3, v3
	buffer_store_dword v8, off, s[28:31], 0 offset:344 ; 4-byte Folded Spill
	s_nop 0
	buffer_store_dword v9, off, s[28:31], 0 offset:348 ; 4-byte Folded Spill
	v_cvt_f16_f32_e32 v2, v2
	v_cvt_f16_f32_e32 v3, v3
	v_cvt_f32_f16_e32 v13, v2
	v_cvt_f32_f16_e32 v12, v3
	v_pk_fma_f32 v[118:119], v[12:13], v[82:83], v[0:1] op_sel_hi:[1,0,1]
	v_sub_u32_sdwa v0, v59, v103 dst_sel:DWORD dst_unused:UNUSED_PAD src0_sel:BYTE_1 src1_sel:DWORD
	v_sub_u32_sdwa v1, v58, v123 dst_sel:DWORD dst_unused:UNUSED_PAD src0_sel:BYTE_1 src1_sel:DWORD
	v_cvt_f32_i32_e32 v0, v0
	v_cvt_f32_i32_e32 v1, v1
	v_pk_fma_f32 v[104:105], v[12:13], v[46:47], v[10:11] op_sel_hi:[1,0,1]
	v_pk_fma_f32 v[28:29], v[12:13], v[70:71], v[20:21] op_sel_hi:[1,0,1]
	v_cvt_f16_f32_e32 v0, v0
	v_cvt_f16_f32_e32 v2, v1
	v_pk_fma_f32 v[34:35], v[12:13], v[62:63], v[6:7] op_sel_hi:[1,0,1]
	v_pk_fma_f32 v[108:109], v[12:13], v[66:67], v[4:5] op_sel_hi:[1,0,1]
	v_cvt_f32_f16_e32 v1, v0
	v_cvt_f32_f16_e32 v0, v2
	buffer_load_dword v2, off, s[28:31], 0 offset:144 ; 4-byte Folded Reload
	buffer_load_dword v3, off, s[28:31], 0 offset:148 ; 4-byte Folded Reload
	;; [unrolled: 1-line block ×6, first 2 shown]
	v_pk_fma_f32 v[110:111], v[12:13], v[74:75], v[110:111] op_sel_hi:[1,0,1]
	v_pk_fma_f32 v[112:113], v[12:13], v[78:79], v[106:107] op_sel_hi:[1,0,1]
	v_cvt_f32_f16_sdwa v12, v48 dst_sel:DWORD dst_unused:UNUSED_PAD src0_sel:WORD_1
	v_cvt_f32_f16_sdwa v4, v52 dst_sel:DWORD dst_unused:UNUSED_PAD src0_sel:WORD_1
	v_cvt_f32_f16_e32 v48, v41
	v_cvt_f32_f16_e32 v52, v45
	v_pk_fma_f32 v[6:7], v[0:1], v[4:5], v[50:51] op_sel_hi:[1,0,1]
	s_waitcnt vmcnt(4)
	v_pk_fma_f32 v[20:21], v[0:1], v[12:13], v[2:3] op_sel_hi:[1,0,1]
	buffer_load_dword v2, off, s[28:31], 0 offset:96 ; 4-byte Folded Reload
	buffer_load_dword v3, off, s[28:31], 0 offset:100 ; 4-byte Folded Reload
	s_waitcnt vmcnt(2)
	v_pk_mov_b32 v[46:47], v[10:11], v[10:11] op_sel:[0,1]
	v_cvt_f32_f16_sdwa v46, v46 dst_sel:DWORD dst_unused:UNUSED_PAD src0_sel:WORD_1
	s_waitcnt vmcnt(0)
	v_pk_fma_f32 v[50:51], v[0:1], v[46:47], v[2:3] op_sel_hi:[1,0,1]
	buffer_load_dword v2, off, s[28:31], 0 offset:88 ; 4-byte Folded Reload
	buffer_load_dword v3, off, s[28:31], 0 offset:92 ; 4-byte Folded Reload
	s_waitcnt vmcnt(0)
	v_pk_fma_f32 v[106:107], v[0:1], v[32:33], v[2:3] op_sel_hi:[1,0,1]
	buffer_load_dword v2, off, s[28:31], 0 offset:64 ; 4-byte Folded Reload
	buffer_load_dword v3, off, s[28:31], 0 offset:68 ; 4-byte Folded Reload
	;; [unrolled: 1-line block ×6, first 2 shown]
	s_waitcnt vmcnt(4)
	v_pk_fma_f32 v[2:3], v[0:1], v[36:37], v[2:3] op_sel_hi:[1,0,1]
	s_waitcnt vmcnt(2)
	v_pk_fma_f32 v[8:9], v[0:1], v[40:41], v[8:9] op_sel_hi:[1,0,1]
	;; [unrolled: 2-line block ×3, first 2 shown]
	v_sub_u32_sdwa v0, v60, v95 dst_sel:DWORD dst_unused:UNUSED_PAD src0_sel:BYTE_1 src1_sel:DWORD
	v_sub_u32_sdwa v1, v61, v94 dst_sel:DWORD dst_unused:UNUSED_PAD src0_sel:BYTE_1 src1_sel:DWORD
	v_cvt_f32_i32_e32 v0, v0
	v_cvt_f32_i32_e32 v1, v1
	v_cvt_f16_f32_e32 v0, v0
	v_cvt_f16_f32_e32 v1, v1
	v_cvt_f32_f16_e32 v0, v0
	v_cvt_f32_f16_e32 v1, v1
	v_pk_fma_f32 v[22:23], v[0:1], v[4:5], v[22:23] op_sel_hi:[1,0,1]
	buffer_load_dword v4, off, s[28:31], 0 offset:120 ; 4-byte Folded Reload
	buffer_load_dword v5, off, s[28:31], 0 offset:124 ; 4-byte Folded Reload
	v_pk_fma_f32 v[12:13], v[0:1], v[12:13], v[38:39] op_sel_hi:[1,0,1]
	v_pk_fma_f32 v[42:43], v[0:1], v[40:41], v[42:43] op_sel_hi:[1,0,1]
	;; [unrolled: 1-line block ×3, first 2 shown]
	v_cvt_f32_f16_e32 v40, v47
	v_cvt_f32_f16_e32 v44, v33
	s_waitcnt vmcnt(0)
	v_pk_fma_f32 v[38:39], v[0:1], v[46:47], v[4:5] op_sel_hi:[1,0,1]
	buffer_load_dword v4, off, s[28:31], 0 offset:128 ; 4-byte Folded Reload
	buffer_load_dword v5, off, s[28:31], 0 offset:132 ; 4-byte Folded Reload
	v_cvt_f32_f16_e32 v46, v37
	s_waitcnt vmcnt(0)
	v_pk_fma_f32 v[14:15], v[0:1], v[32:33], v[4:5] op_sel_hi:[1,0,1]
	buffer_load_dword v4, off, s[28:31], 0 offset:136 ; 4-byte Folded Reload
	buffer_load_dword v5, off, s[28:31], 0 offset:140 ; 4-byte Folded Reload
	s_waitcnt vmcnt(0)
	v_pk_fma_f32 v[16:17], v[0:1], v[36:37], v[4:5] op_sel_hi:[1,0,1]
	v_sub_u32_sdwa v0, v59, v103 dst_sel:DWORD dst_unused:UNUSED_PAD src0_sel:BYTE_2 src1_sel:DWORD
	v_sub_u32_sdwa v1, v58, v123 dst_sel:DWORD dst_unused:UNUSED_PAD src0_sel:BYTE_2 src1_sel:DWORD
	v_cvt_f32_i32_e32 v0, v0
	v_cvt_f32_i32_e32 v1, v1
	v_cvt_f32_f16_e32 v36, v49
	v_mov_b32_e32 v5, v47
	v_cvt_f16_f32_e32 v0, v0
	v_cvt_f16_f32_e32 v32, v1
	v_cvt_f32_f16_e32 v1, v0
	v_cvt_f32_f16_e32 v0, v32
	;; [unrolled: 1-line block ×3, first 2 shown]
	v_pk_fma_f32 v[20:21], v[0:1], v[36:37], v[20:21] op_sel_hi:[1,0,1]
	v_pk_fma_f32 v[6:7], v[0:1], v[32:33], v[6:7] op_sel_hi:[1,0,1]
	;; [unrolled: 1-line block ×7, first 2 shown]
	v_sub_u32_sdwa v10, v61, v94 dst_sel:DWORD dst_unused:UNUSED_PAD src0_sel:BYTE_2 src1_sel:DWORD
	v_sub_u32_sdwa v11, v60, v95 dst_sel:DWORD dst_unused:UNUSED_PAD src0_sel:BYTE_2 src1_sel:DWORD
	v_cvt_f32_i32_e32 v10, v10
	v_cvt_f32_i32_e32 v11, v11
	v_cvt_f16_f32_e32 v10, v10
	v_cvt_f16_f32_e32 v47, v11
	v_cvt_f32_f16_e32 v11, v10
	v_cvt_f32_f16_e32 v10, v47
	v_pk_fma_f32 v[12:13], v[10:11], v[36:37], v[12:13] op_sel_hi:[1,0,1]
	v_pk_fma_f32 v[22:23], v[10:11], v[32:33], v[22:23] op_sel_hi:[1,0,1]
	;; [unrolled: 1-line block ×7, first 2 shown]
	v_sub_u32_sdwa v19, v58, v123 dst_sel:DWORD dst_unused:UNUSED_PAD src0_sel:BYTE_3 src1_sel:DWORD
	v_sub_u32_sdwa v47, v59, v103 dst_sel:DWORD dst_unused:UNUSED_PAD src0_sel:BYTE_3 src1_sel:DWORD
	v_cvt_f32_f16_sdwa v36, v33 dst_sel:DWORD dst_unused:UNUSED_PAD src0_sel:WORD_1
	v_cvt_f32_i32_e32 v33, v47
	v_cvt_f32_i32_e32 v19, v19
	v_cvt_f32_f16_sdwa v18, v53 dst_sel:DWORD dst_unused:UNUSED_PAD src0_sel:WORD_1
	v_cvt_f32_f16_sdwa v48, v49 dst_sel:DWORD dst_unused:UNUSED_PAD src0_sel:WORD_1
	v_cvt_f16_f32_e32 v33, v33
	v_cvt_f16_f32_e32 v19, v19
	v_cvt_f32_f16_sdwa v32, v5 dst_sel:DWORD dst_unused:UNUSED_PAD src0_sel:WORD_1
	v_cvt_f32_f16_sdwa v40, v37 dst_sel:DWORD dst_unused:UNUSED_PAD src0_sel:WORD_1
	v_cvt_f32_f16_e32 v53, v33
	v_cvt_f32_f16_e32 v52, v19
	v_cvt_f32_f16_sdwa v44, v41 dst_sel:DWORD dst_unused:UNUSED_PAD src0_sel:WORD_1
	v_cvt_f32_f16_sdwa v46, v45 dst_sel:DWORD dst_unused:UNUSED_PAD src0_sel:WORD_1
	v_sub_u32_sdwa v58, v60, v95 dst_sel:DWORD dst_unused:UNUSED_PAD src0_sel:BYTE_3 src1_sel:DWORD
	v_pk_fma_f32 v[6:7], v[52:53], v[18:19], v[6:7] op_sel_hi:[1,0,1]
	buffer_store_dword v6, off, s[28:31], 0 offset:168 ; 4-byte Folded Spill
	s_nop 0
	buffer_store_dword v7, off, s[28:31], 0 offset:172 ; 4-byte Folded Spill
	v_pk_fma_f32 v[6:7], v[52:53], v[48:49], v[20:21] op_sel_hi:[1,0,1]
	buffer_store_dword v6, off, s[28:31], 0 offset:176 ; 4-byte Folded Spill
	s_nop 0
	buffer_store_dword v7, off, s[28:31], 0 offset:180 ; 4-byte Folded Spill
	;; [unrolled: 4-line block ×3, first 2 shown]
	v_pk_fma_f32 v[6:7], v[52:53], v[36:37], v[106:107] op_sel_hi:[1,0,1]
	v_pk_fma_f32 v[2:3], v[52:53], v[40:41], v[2:3] op_sel_hi:[1,0,1]
	buffer_store_dword v6, off, s[28:31], 0 offset:152 ; 4-byte Folded Spill
	s_nop 0
	buffer_store_dword v7, off, s[28:31], 0 offset:156 ; 4-byte Folded Spill
	buffer_store_dword v2, off, s[28:31], 0 offset:144 ; 4-byte Folded Spill
	s_nop 0
	buffer_store_dword v3, off, s[28:31], 0 offset:148 ; 4-byte Folded Spill
	v_pk_fma_f32 v[2:3], v[52:53], v[44:45], v[8:9] op_sel_hi:[1,0,1]
	v_pk_fma_f32 v[0:1], v[52:53], v[46:47], v[0:1] op_sel_hi:[1,0,1]
	v_sub_u32_sdwa v59, v61, v94 dst_sel:DWORD dst_unused:UNUSED_PAD src0_sel:BYTE_3 src1_sel:DWORD
	buffer_store_dword v2, off, s[28:31], 0 offset:136 ; 4-byte Folded Spill
	s_nop 0
	buffer_store_dword v3, off, s[28:31], 0 offset:140 ; 4-byte Folded Spill
	buffer_store_dword v0, off, s[28:31], 0 offset:128 ; 4-byte Folded Spill
	s_nop 0
	buffer_store_dword v1, off, s[28:31], 0 offset:132 ; 4-byte Folded Spill
	v_cvt_f32_i32_e32 v0, v59
	v_cvt_f32_i32_e32 v1, v58
	v_cvt_f16_f32_e32 v0, v0
	v_cvt_f16_f32_e32 v2, v1
	v_cvt_f32_f16_e32 v1, v0
	v_cvt_f32_f16_e32 v0, v2
	v_pk_fma_f32 v[2:3], v[0:1], v[48:49], v[12:13] op_sel_hi:[1,0,1]
	buffer_store_dword v2, off, s[28:31], 0 offset:120 ; 4-byte Folded Spill
	s_nop 0
	buffer_store_dword v3, off, s[28:31], 0 offset:124 ; 4-byte Folded Spill
	v_pk_fma_f32 v[2:3], v[0:1], v[18:19], v[22:23] op_sel_hi:[1,0,1]
	buffer_store_dword v2, off, s[28:31], 0 offset:112 ; 4-byte Folded Spill
	s_nop 0
	buffer_store_dword v3, off, s[28:31], 0 offset:116 ; 4-byte Folded Spill
	;; [unrolled: 4-line block ×5, first 2 shown]
	v_pk_fma_f32 v[2:3], v[0:1], v[44:45], v[42:43] op_sel_hi:[1,0,1]
	v_pk_fma_f32 v[0:1], v[0:1], v[46:47], v[10:11] op_sel_hi:[1,0,1]
	buffer_store_dword v2, off, s[28:31], 0 offset:72 ; 4-byte Folded Spill
	s_nop 0
	buffer_store_dword v3, off, s[28:31], 0 offset:76 ; 4-byte Folded Spill
	buffer_store_dword v0, off, s[28:31], 0 offset:64 ; 4-byte Folded Spill
	s_nop 0
	buffer_store_dword v1, off, s[28:31], 0 offset:68 ; 4-byte Folded Spill
	global_load_dwordx4 v[4:7], v[120:121], off
	buffer_load_dword v46, off, s[28:31], 0 offset:328 ; 4-byte Folded Reload
	buffer_load_dword v47, off, s[28:31], 0 offset:332 ; 4-byte Folded Reload
	;; [unrolled: 1-line block ×28, first 2 shown]
	v_cvt_f32_f16_e32 v10, v56
	v_cvt_f32_f16_e32 v32, v126
	v_cvt_f32_f16_e32 v38, v26
	v_cvt_f32_f16_e32 v42, v30
	v_cvt_f32_f16_sdwa v26, v26 dst_sel:DWORD dst_unused:UNUSED_PAD src0_sel:WORD_1
	v_cvt_f32_f16_sdwa v30, v30 dst_sel:DWORD dst_unused:UNUSED_PAD src0_sel:WORD_1
	s_waitcnt vmcnt(28)
	v_sub_u32_sdwa v0, v5, v103 dst_sel:DWORD dst_unused:UNUSED_PAD src0_sel:BYTE_0 src1_sel:DWORD
	v_sub_u32_sdwa v1, v4, v123 dst_sel:DWORD dst_unused:UNUSED_PAD src0_sel:BYTE_0 src1_sel:DWORD
	v_cvt_f32_i32_e32 v0, v0
	v_cvt_f32_i32_e32 v1, v1
	s_waitcnt vmcnt(17)
	v_cvt_f32_f16_e32 v14, v52
	v_cvt_f32_f16_sdwa v50, v52 dst_sel:DWORD dst_unused:UNUSED_PAD src0_sel:WORD_1
	v_cvt_f16_f32_e32 v0, v0
	v_cvt_f16_f32_e32 v2, v1
	s_waitcnt vmcnt(11)
	v_cvt_f32_f16_e32 v18, v22
	v_cvt_f32_f16_sdwa v52, v22 dst_sel:DWORD dst_unused:UNUSED_PAD src0_sel:WORD_1
	v_cvt_f32_f16_e32 v1, v0
	v_cvt_f32_f16_e32 v0, v2
	;; [unrolled: 1-line block ×3, first 2 shown]
	v_cvt_f32_f16_sdwa v22, v126 dst_sel:DWORD dst_unused:UNUSED_PAD src0_sel:WORD_1
	v_mov_b32_e32 v51, v49
	v_pk_fma_f32 v[12:13], v[0:1], v[10:11], v[12:13] op_sel_hi:[1,0,1]
	v_pk_fma_f32 v[8:9], v[0:1], v[2:3], v[8:9] op_sel_hi:[1,0,1]
	v_sub_u32_sdwa v3, v6, v95 dst_sel:DWORD dst_unused:UNUSED_PAD src0_sel:BYTE_0 src1_sel:DWORD
	v_sub_u32_sdwa v11, v7, v94 dst_sel:DWORD dst_unused:UNUSED_PAD src0_sel:BYTE_0 src1_sel:DWORD
	v_cvt_f32_i32_e32 v3, v3
	v_cvt_f32_i32_e32 v11, v11
	v_pk_fma_f32 v[16:17], v[0:1], v[14:15], v[16:17] op_sel_hi:[1,0,1]
	s_waitcnt vmcnt(8)
	v_pk_fma_f32 v[20:21], v[0:1], v[18:19], v[20:21] op_sel_hi:[1,0,1]
	v_cvt_f16_f32_e32 v3, v3
	v_cvt_f16_f32_e32 v11, v11
	s_waitcnt vmcnt(6)
	v_pk_fma_f32 v[36:37], v[0:1], v[32:33], v[36:37] op_sel_hi:[1,0,1]
	s_waitcnt vmcnt(4)
	v_pk_fma_f32 v[40:41], v[0:1], v[38:39], v[40:41] op_sel_hi:[1,0,1]
	;; [unrolled: 2-line block ×3, first 2 shown]
	v_cvt_f32_f16_e32 v44, v3
	v_cvt_f32_f16_e32 v45, v11
	v_mov_b32_e32 v59, v53
	s_waitcnt vmcnt(0)
	v_pk_fma_f32 v[10:11], v[44:45], v[10:11], v[46:47] op_sel_hi:[1,0,1]
	buffer_load_dword v46, off, s[28:31], 0 offset:224 ; 4-byte Folded Reload
	buffer_load_dword v47, off, s[28:31], 0 offset:228 ; 4-byte Folded Reload
	s_waitcnt vmcnt(0)
	v_pk_fma_f32 v[2:3], v[44:45], v[2:3], v[46:47] op_sel_hi:[1,0,1]
	buffer_load_dword v46, off, s[28:31], 0 offset:232 ; 4-byte Folded Reload
	buffer_load_dword v47, off, s[28:31], 0 offset:236 ; 4-byte Folded Reload
	;; [unrolled: 4-line block ×6, first 2 shown]
	s_waitcnt vmcnt(0)
	v_pk_fma_f32 v[42:43], v[44:45], v[42:43], v[46:47] op_sel_hi:[1,0,1]
	v_sub_u32_sdwa v44, v5, v103 dst_sel:DWORD dst_unused:UNUSED_PAD src0_sel:BYTE_1 src1_sel:DWORD
	v_sub_u32_sdwa v45, v4, v123 dst_sel:DWORD dst_unused:UNUSED_PAD src0_sel:BYTE_1 src1_sel:DWORD
	v_cvt_f32_i32_e32 v44, v44
	v_cvt_f32_i32_e32 v45, v45
	v_cvt_f16_f32_e32 v44, v44
	v_cvt_f16_f32_e32 v46, v45
	v_cvt_f32_f16_e32 v45, v44
	v_cvt_f32_f16_e32 v44, v46
	v_cvt_f32_f16_sdwa v46, v48 dst_sel:DWORD dst_unused:UNUSED_PAD src0_sel:WORD_1
	v_cvt_f32_f16_sdwa v48, v56 dst_sel:DWORD dst_unused:UNUSED_PAD src0_sel:WORD_1
	v_pk_fma_f32 v[16:17], v[44:45], v[50:51], v[16:17] op_sel_hi:[1,0,1]
	v_pk_fma_f32 v[8:9], v[44:45], v[46:47], v[8:9] op_sel_hi:[1,0,1]
	;; [unrolled: 1-line block ×7, first 2 shown]
	v_sub_u32_sdwa v44, v7, v94 dst_sel:DWORD dst_unused:UNUSED_PAD src0_sel:BYTE_1 src1_sel:DWORD
	v_sub_u32_sdwa v45, v6, v95 dst_sel:DWORD dst_unused:UNUSED_PAD src0_sel:BYTE_1 src1_sel:DWORD
	v_cvt_f32_i32_e32 v44, v44
	v_cvt_f32_i32_e32 v45, v45
	v_cvt_f16_f32_e32 v44, v44
	v_cvt_f16_f32_e32 v47, v45
	v_cvt_f32_f16_e32 v45, v44
	v_cvt_f32_f16_e32 v44, v47
	v_pk_fma_f32 v[32:33], v[44:45], v[22:23], v[32:33] op_sel_hi:[1,0,1]
	v_pk_fma_f32 v[38:39], v[44:45], v[26:27], v[38:39] op_sel_hi:[1,0,1]
	v_sub_u32_sdwa v22, v5, v103 dst_sel:DWORD dst_unused:UNUSED_PAD src0_sel:BYTE_2 src1_sel:DWORD
	v_sub_u32_sdwa v26, v4, v123 dst_sel:DWORD dst_unused:UNUSED_PAD src0_sel:BYTE_2 src1_sel:DWORD
	v_cvt_f32_i32_e32 v22, v22
	v_cvt_f32_i32_e32 v26, v26
	v_pk_fma_f32 v[10:11], v[44:45], v[48:49], v[10:11] op_sel_hi:[1,0,1]
	v_pk_fma_f32 v[2:3], v[44:45], v[46:47], v[2:3] op_sel_hi:[1,0,1]
	v_cvt_f16_f32_e32 v22, v22
	v_cvt_f16_f32_e32 v26, v26
	v_pk_fma_f32 v[14:15], v[44:45], v[50:51], v[14:15] op_sel_hi:[1,0,1]
	v_pk_fma_f32 v[18:19], v[44:45], v[52:53], v[18:19] op_sel_hi:[1,0,1]
	;; [unrolled: 1-line block ×3, first 2 shown]
	v_cvt_f32_f16_e32 v45, v22
	v_cvt_f32_f16_e32 v44, v26
	;; [unrolled: 1-line block ×8, first 2 shown]
	v_pk_fma_f32 v[52:53], v[44:45], v[50:51], v[40:41] op_sel_hi:[1,0,1]
	v_cvt_f32_f16_e32 v40, v31
	v_pk_fma_f32 v[8:9], v[44:45], v[22:23], v[8:9] op_sel_hi:[1,0,1]
	v_pk_fma_f32 v[12:13], v[44:45], v[26:27], v[12:13] op_sel_hi:[1,0,1]
	;; [unrolled: 1-line block ×6, first 2 shown]
	v_sub_u32_sdwa v41, v7, v94 dst_sel:DWORD dst_unused:UNUSED_PAD src0_sel:BYTE_2 src1_sel:DWORD
	v_sub_u32_sdwa v44, v6, v95 dst_sel:DWORD dst_unused:UNUSED_PAD src0_sel:BYTE_2 src1_sel:DWORD
	v_cvt_f32_i32_e32 v41, v41
	v_cvt_f32_i32_e32 v44, v44
	v_sub_u32_sdwa v5, v5, v103 dst_sel:DWORD dst_unused:UNUSED_PAD src0_sel:BYTE_3 src1_sel:DWORD
	v_cvt_f32_i32_e32 v5, v5
	v_cvt_f16_f32_e32 v41, v41
	v_cvt_f16_f32_e32 v44, v44
	v_sub_u32_sdwa v7, v7, v94 dst_sel:DWORD dst_unused:UNUSED_PAD src0_sel:BYTE_3 src1_sel:DWORD
	v_cvt_f16_f32_e32 v5, v5
	v_cvt_f32_f16_e32 v45, v41
	v_cvt_f32_f16_e32 v44, v44
	;; [unrolled: 1-line block ×3, first 2 shown]
	v_pk_fma_f32 v[32:33], v[44:45], v[48:49], v[32:33] op_sel_hi:[1,0,1]
	v_pk_fma_f32 v[48:49], v[44:45], v[50:51], v[38:39] op_sel_hi:[1,0,1]
	v_sub_u32_sdwa v38, v4, v123 dst_sel:DWORD dst_unused:UNUSED_PAD src0_sel:BYTE_3 src1_sel:DWORD
	v_pk_fma_f32 v[2:3], v[44:45], v[22:23], v[2:3] op_sel_hi:[1,0,1]
	v_cvt_f32_f16_sdwa v22, v23 dst_sel:DWORD dst_unused:UNUSED_PAD src0_sel:WORD_1
	v_cvt_f32_i32_e32 v23, v38
	v_cvt_f32_f16_sdwa v4, v51 dst_sel:DWORD dst_unused:UNUSED_PAD src0_sel:WORD_1
	v_cvt_f32_f16_sdwa v50, v57 dst_sel:DWORD dst_unused:UNUSED_PAD src0_sel:WORD_1
	v_sub_u32_sdwa v39, v6, v95 dst_sel:DWORD dst_unused:UNUSED_PAD src0_sel:BYTE_3 src1_sel:DWORD
	v_cvt_f16_f32_e32 v23, v23
	v_cvt_f32_f16_sdwa v6, v59 dst_sel:DWORD dst_unused:UNUSED_PAD src0_sel:WORD_1
	v_pk_fma_f32 v[10:11], v[44:45], v[26:27], v[10:11] op_sel_hi:[1,0,1]
	v_pk_fma_f32 v[18:19], v[44:45], v[46:47], v[18:19] op_sel_hi:[1,0,1]
	v_cvt_f32_f16_e32 v60, v23
	v_cvt_f32_f16_sdwa v26, v127 dst_sel:DWORD dst_unused:UNUSED_PAD src0_sel:WORD_1
	v_cvt_f32_f16_sdwa v46, v31 dst_sel:DWORD dst_unused:UNUSED_PAD src0_sel:WORD_1
	v_pk_fma_f32 v[14:15], v[44:45], v[30:31], v[14:15] op_sel_hi:[1,0,1]
	v_pk_fma_f32 v[8:9], v[60:61], v[4:5], v[8:9] op_sel_hi:[1,0,1]
	buffer_store_dword v8, off, s[28:31], 0 offset:272 ; 4-byte Folded Spill
	s_nop 0
	buffer_store_dword v9, off, s[28:31], 0 offset:276 ; 4-byte Folded Spill
	v_pk_fma_f32 v[8:9], v[60:61], v[50:51], v[12:13] op_sel_hi:[1,0,1]
	buffer_store_dword v8, off, s[28:31], 0 offset:288 ; 4-byte Folded Spill
	s_nop 0
	buffer_store_dword v9, off, s[28:31], 0 offset:292 ; 4-byte Folded Spill
	;; [unrolled: 4-line block ×4, first 2 shown]
	v_pk_fma_f32 v[8:9], v[60:61], v[26:27], v[36:37] op_sel_hi:[1,0,1]
	v_pk_fma_f32 v[0:1], v[60:61], v[46:47], v[0:1] op_sel_hi:[1,0,1]
	buffer_store_dword v8, off, s[28:31], 0 offset:248 ; 4-byte Folded Spill
	s_nop 0
	buffer_store_dword v9, off, s[28:31], 0 offset:252 ; 4-byte Folded Spill
	buffer_store_dword v0, off, s[28:31], 0 offset:240 ; 4-byte Folded Spill
	s_nop 0
	buffer_store_dword v1, off, s[28:31], 0 offset:244 ; 4-byte Folded Spill
	v_cvt_f32_i32_e32 v0, v7
	v_cvt_f32_i32_e32 v1, v39
	v_cvt_f32_f16_sdwa v30, v27 dst_sel:DWORD dst_unused:UNUSED_PAD src0_sel:WORD_1
	v_pk_fma_f32 v[44:45], v[44:45], v[40:41], v[42:43] op_sel_hi:[1,0,1]
	v_cvt_f16_f32_e32 v0, v0
	v_cvt_f16_f32_e32 v5, v1
	v_pk_fma_f32 v[120:121], v[60:61], v[30:31], v[52:53] op_sel_hi:[1,0,1]
	v_cvt_f32_f16_sdwa v12, v79 dst_sel:DWORD dst_unused:UNUSED_PAD src0_sel:WORD_1
	v_cvt_f32_f16_e32 v1, v0
	v_cvt_f32_f16_e32 v0, v5
	;; [unrolled: 1-line block ×3, first 2 shown]
	v_pk_fma_f32 v[8:9], v[0:1], v[50:51], v[10:11] op_sel_hi:[1,0,1]
	v_pk_fma_f32 v[2:3], v[0:1], v[4:5], v[2:3] op_sel_hi:[1,0,1]
	buffer_store_dword v8, off, s[28:31], 0 offset:232 ; 4-byte Folded Spill
	s_nop 0
	buffer_store_dword v9, off, s[28:31], 0 offset:236 ; 4-byte Folded Spill
	buffer_store_dword v2, off, s[28:31], 0 offset:224 ; 4-byte Folded Spill
	s_nop 0
	buffer_store_dword v3, off, s[28:31], 0 offset:228 ; 4-byte Folded Spill
	v_pk_fma_f32 v[2:3], v[0:1], v[6:7], v[14:15] op_sel_hi:[1,0,1]
	buffer_store_dword v2, off, s[28:31], 0 offset:216 ; 4-byte Folded Spill
	s_nop 0
	buffer_store_dword v3, off, s[28:31], 0 offset:220 ; 4-byte Folded Spill
	v_pk_fma_f32 v[2:3], v[0:1], v[22:23], v[18:19] op_sel_hi:[1,0,1]
	;; [unrolled: 4-line block ×4, first 2 shown]
	v_pk_fma_f32 v[0:1], v[0:1], v[46:47], v[44:45] op_sel_hi:[1,0,1]
	buffer_store_dword v2, off, s[28:31], 0 offset:192 ; 4-byte Folded Spill
	s_nop 0
	buffer_store_dword v3, off, s[28:31], 0 offset:196 ; 4-byte Folded Spill
	buffer_store_dword v0, off, s[28:31], 0 offset:184 ; 4-byte Folded Spill
	s_nop 0
	buffer_store_dword v1, off, s[28:31], 0 offset:188 ; 4-byte Folded Spill
	buffer_load_dword v6, off, s[28:31], 0 offset:344 ; 4-byte Folded Reload
	buffer_load_dword v7, off, s[28:31], 0 offset:348 ; 4-byte Folded Reload
	v_sub_u32_sdwa v0, v90, v123 dst_sel:DWORD dst_unused:UNUSED_PAD src0_sel:BYTE_3 src1_sel:DWORD
	v_sub_u32_sdwa v1, v91, v103 dst_sel:DWORD dst_unused:UNUSED_PAD src0_sel:BYTE_3 src1_sel:DWORD
	v_cvt_f32_i32_e32 v1, v1
	v_cvt_f32_i32_e32 v0, v0
	v_cvt_f32_f16_sdwa v4, v67 dst_sel:DWORD dst_unused:UNUSED_PAD src0_sel:WORD_1
	v_sub_u32_sdwa v5, v93, v94 dst_sel:DWORD dst_unused:UNUSED_PAD src0_sel:BYTE_3 src1_sel:DWORD
	v_cvt_f16_f32_e32 v1, v1
	v_cvt_f16_f32_e32 v0, v0
	v_cvt_f32_f16_sdwa v2, v63 dst_sel:DWORD dst_unused:UNUSED_PAD src0_sel:WORD_1
	v_cvt_f32_f16_sdwa v8, v75 dst_sel:DWORD dst_unused:UNUSED_PAD src0_sel:WORD_1
	v_cvt_f32_f16_e32 v1, v1
	v_cvt_f32_f16_e32 v0, v0
	v_cvt_f32_f16_sdwa v10, v87 dst_sel:DWORD dst_unused:UNUSED_PAD src0_sel:WORD_1
	v_cvt_f32_f16_sdwa v30, v83 dst_sel:DWORD dst_unused:UNUSED_PAD src0_sel:WORD_1
	v_sub_u32_sdwa v3, v92, v95 dst_sel:DWORD dst_unused:UNUSED_PAD src0_sel:BYTE_3 src1_sel:DWORD
	v_pk_fma_f32 v[14:15], v[0:1], v[2:3], v[116:117] op_sel_hi:[1,0,1]
	v_pk_fma_f32 v[22:23], v[0:1], v[10:11], v[24:25] op_sel_hi:[1,0,1]
	;; [unrolled: 1-line block ×4, first 2 shown]
	v_cvt_f32_f16_e32 v44, v68
	v_cvt_f32_f16_e32 v46, v72
	;; [unrolled: 1-line block ×4, first 2 shown]
	v_pk_fma_f32 v[20:21], v[0:1], v[8:9], v[96:97] op_sel_hi:[1,0,1]
	s_waitcnt vmcnt(0)
	v_pk_fma_f32 v[16:17], v[0:1], v[4:5], v[6:7] op_sel_hi:[1,0,1]
	v_cvt_f32_f16_sdwa v6, v71 dst_sel:DWORD dst_unused:UNUSED_PAD src0_sel:WORD_1
	v_pk_fma_f32 v[18:19], v[0:1], v[6:7], v[54:55] op_sel_hi:[1,0,1]
	v_cvt_f32_i32_e32 v0, v3
	v_cvt_f32_i32_e32 v1, v5
	v_cvt_f32_f16_e32 v54, v84
	v_cvt_f16_f32_e32 v0, v0
	v_cvt_f16_f32_e32 v1, v1
	v_cvt_f32_f16_e32 v32, v0
	v_cvt_f32_f16_e32 v33, v1
	v_pk_fma_f32 v[2:3], v[32:33], v[2:3], v[28:29] op_sel_hi:[1,0,1]
	v_add_co_u32_e32 v28, vcc, s0, v124
	v_addc_co_u32_e32 v29, vcc, v125, v115, vcc
	v_pk_fma_f32 v[0:1], v[32:33], v[10:11], v[118:119] op_sel_hi:[1,0,1]
	v_pk_fma_f32 v[4:5], v[32:33], v[4:5], v[104:105] op_sel_hi:[1,0,1]
	;; [unrolled: 1-line block ×6, first 2 shown]
	global_load_dwordx4 v[30:33], v[28:29], off
	s_waitcnt vmcnt(0)
	v_sub_u32_sdwa v34, v31, v103 dst_sel:DWORD dst_unused:UNUSED_PAD src0_sel:BYTE_0 src1_sel:DWORD
	v_sub_u32_sdwa v35, v30, v123 dst_sel:DWORD dst_unused:UNUSED_PAD src0_sel:BYTE_0 src1_sel:DWORD
	v_cvt_f32_i32_e32 v34, v34
	v_cvt_f32_i32_e32 v35, v35
	v_cvt_f16_f32_e32 v34, v34
	v_cvt_f16_f32_e32 v36, v35
	v_cvt_f32_f16_e32 v35, v34
	v_cvt_f32_f16_e32 v34, v36
	;; [unrolled: 1-line block ×3, first 2 shown]
	v_pk_fma_f32 v[16:17], v[34:35], v[44:45], v[16:17] op_sel_hi:[1,0,1]
	v_pk_fma_f32 v[14:15], v[34:35], v[36:37], v[14:15] op_sel_hi:[1,0,1]
	;; [unrolled: 1-line block ×7, first 2 shown]
	v_sub_u32_sdwa v34, v33, v94 dst_sel:DWORD dst_unused:UNUSED_PAD src0_sel:BYTE_0 src1_sel:DWORD
	v_sub_u32_sdwa v35, v32, v95 dst_sel:DWORD dst_unused:UNUSED_PAD src0_sel:BYTE_0 src1_sel:DWORD
	v_cvt_f32_i32_e32 v34, v34
	v_cvt_f32_i32_e32 v35, v35
	v_cvt_f16_f32_e32 v34, v34
	v_cvt_f16_f32_e32 v37, v35
	v_cvt_f32_f16_e32 v35, v34
	v_cvt_f32_f16_e32 v34, v37
	v_pk_fma_f32 v[0:1], v[34:35], v[50:51], v[0:1] op_sel_hi:[1,0,1]
	v_pk_fma_f32 v[2:3], v[34:35], v[36:37], v[2:3] op_sel_hi:[1,0,1]
	;; [unrolled: 1-line block ×7, first 2 shown]
	v_sub_u32_sdwa v34, v31, v103 dst_sel:DWORD dst_unused:UNUSED_PAD src0_sel:BYTE_1 src1_sel:DWORD
	v_sub_u32_sdwa v35, v30, v123 dst_sel:DWORD dst_unused:UNUSED_PAD src0_sel:BYTE_1 src1_sel:DWORD
	v_cvt_f32_i32_e32 v34, v34
	v_cvt_f32_i32_e32 v35, v35
	v_cvt_f32_f16_sdwa v44, v68 dst_sel:DWORD dst_unused:UNUSED_PAD src0_sel:WORD_1
	v_cvt_f32_f16_sdwa v46, v72 dst_sel:DWORD dst_unused:UNUSED_PAD src0_sel:WORD_1
	v_cvt_f16_f32_e32 v34, v34
	v_cvt_f16_f32_e32 v36, v35
	v_cvt_f32_f16_sdwa v48, v76 dst_sel:DWORD dst_unused:UNUSED_PAD src0_sel:WORD_1
	v_cvt_f32_f16_sdwa v50, v88 dst_sel:DWORD dst_unused:UNUSED_PAD src0_sel:WORD_1
	v_cvt_f32_f16_e32 v35, v34
	v_cvt_f32_f16_e32 v34, v36
	v_cvt_f32_f16_sdwa v36, v64 dst_sel:DWORD dst_unused:UNUSED_PAD src0_sel:WORD_1
	v_cvt_f32_f16_sdwa v52, v80 dst_sel:DWORD dst_unused:UNUSED_PAD src0_sel:WORD_1
	;; [unrolled: 1-line block ×3, first 2 shown]
	v_pk_fma_f32 v[16:17], v[34:35], v[44:45], v[16:17] op_sel_hi:[1,0,1]
	v_pk_fma_f32 v[14:15], v[34:35], v[36:37], v[14:15] op_sel_hi:[1,0,1]
	;; [unrolled: 1-line block ×7, first 2 shown]
	v_sub_u32_sdwa v34, v33, v94 dst_sel:DWORD dst_unused:UNUSED_PAD src0_sel:BYTE_1 src1_sel:DWORD
	v_sub_u32_sdwa v35, v32, v95 dst_sel:DWORD dst_unused:UNUSED_PAD src0_sel:BYTE_1 src1_sel:DWORD
	v_cvt_f32_i32_e32 v34, v34
	v_cvt_f32_i32_e32 v35, v35
	v_cvt_f16_f32_e32 v34, v34
	v_cvt_f16_f32_e32 v37, v35
	v_cvt_f32_f16_e32 v35, v34
	v_cvt_f32_f16_e32 v34, v37
	v_pk_fma_f32 v[0:1], v[34:35], v[50:51], v[0:1] op_sel_hi:[1,0,1]
	v_pk_fma_f32 v[2:3], v[34:35], v[36:37], v[2:3] op_sel_hi:[1,0,1]
	;; [unrolled: 1-line block ×7, first 2 shown]
	v_sub_u32_sdwa v34, v31, v103 dst_sel:DWORD dst_unused:UNUSED_PAD src0_sel:BYTE_2 src1_sel:DWORD
	v_sub_u32_sdwa v35, v30, v123 dst_sel:DWORD dst_unused:UNUSED_PAD src0_sel:BYTE_2 src1_sel:DWORD
	v_cvt_f32_i32_e32 v34, v34
	v_cvt_f32_i32_e32 v35, v35
	v_cvt_f32_f16_e32 v44, v69
	v_cvt_f32_f16_e32 v46, v73
	v_cvt_f16_f32_e32 v34, v34
	v_cvt_f16_f32_e32 v36, v35
	v_cvt_f32_f16_e32 v48, v89
	v_cvt_f32_f16_e32 v50, v77
	;; [unrolled: 1-line block ×7, first 2 shown]
	v_pk_fma_f32 v[16:17], v[34:35], v[44:45], v[16:17] op_sel_hi:[1,0,1]
	v_pk_fma_f32 v[14:15], v[34:35], v[36:37], v[14:15] op_sel_hi:[1,0,1]
	;; [unrolled: 1-line block ×7, first 2 shown]
	v_sub_u32_sdwa v34, v33, v94 dst_sel:DWORD dst_unused:UNUSED_PAD src0_sel:BYTE_2 src1_sel:DWORD
	v_sub_u32_sdwa v35, v32, v95 dst_sel:DWORD dst_unused:UNUSED_PAD src0_sel:BYTE_2 src1_sel:DWORD
	v_cvt_f32_i32_e32 v34, v34
	v_cvt_f32_i32_e32 v35, v35
	v_sub_u32_sdwa v31, v31, v103 dst_sel:DWORD dst_unused:UNUSED_PAD src0_sel:BYTE_3 src1_sel:DWORD
	v_cvt_f32_i32_e32 v31, v31
	v_cvt_f16_f32_e32 v34, v34
	v_cvt_f16_f32_e32 v37, v35
	v_sub_u32_sdwa v33, v33, v94 dst_sel:DWORD dst_unused:UNUSED_PAD src0_sel:BYTE_3 src1_sel:DWORD
	v_cvt_f16_f32_e32 v31, v31
	v_cvt_f32_f16_e32 v35, v34
	v_cvt_f32_f16_e32 v34, v37
	v_pk_fma_f32 v[0:1], v[34:35], v[48:49], v[0:1] op_sel_hi:[1,0,1]
	v_pk_fma_f32 v[2:3], v[34:35], v[36:37], v[2:3] op_sel_hi:[1,0,1]
	;; [unrolled: 1-line block ×7, first 2 shown]
	v_sub_u32_sdwa v35, v30, v123 dst_sel:DWORD dst_unused:UNUSED_PAD src0_sel:BYTE_3 src1_sel:DWORD
	v_cvt_f32_i32_e32 v35, v35
	v_cvt_f32_f16_sdwa v30, v65 dst_sel:DWORD dst_unused:UNUSED_PAD src0_sel:WORD_1
	v_cvt_f32_f16_sdwa v34, v73 dst_sel:DWORD dst_unused:UNUSED_PAD src0_sel:WORD_1
	v_cvt_f32_f16_e32 v51, v31
	v_cvt_f16_f32_e32 v35, v35
	v_cvt_f32_f16_sdwa v48, v89 dst_sel:DWORD dst_unused:UNUSED_PAD src0_sel:WORD_1
	v_cvt_f32_f16_sdwa v36, v77 dst_sel:DWORD dst_unused:UNUSED_PAD src0_sel:WORD_1
	;; [unrolled: 1-line block ×3, first 2 shown]
	v_cvt_f32_f16_e32 v50, v35
	v_sub_u32_sdwa v37, v32, v95 dst_sel:DWORD dst_unused:UNUSED_PAD src0_sel:BYTE_3 src1_sel:DWORD
	v_cvt_f32_f16_sdwa v46, v85 dst_sel:DWORD dst_unused:UNUSED_PAD src0_sel:WORD_1
	v_cvt_f32_f16_sdwa v32, v69 dst_sel:DWORD dst_unused:UNUSED_PAD src0_sel:WORD_1
	v_pk_fma_f32 v[78:79], v[50:51], v[30:31], v[14:15] op_sel_hi:[1,0,1]
	v_pk_fma_f32 v[14:15], v[50:51], v[34:35], v[18:19] op_sel_hi:[1,0,1]
	buffer_store_dword v14, off, s[28:31], 0 offset:376 ; 4-byte Folded Spill
	s_nop 0
	buffer_store_dword v15, off, s[28:31], 0 offset:380 ; 4-byte Folded Spill
	v_pk_fma_f32 v[14:15], v[50:51], v[48:49], v[22:23] op_sel_hi:[1,0,1]
	buffer_store_dword v14, off, s[28:31], 0 offset:384 ; 4-byte Folded Spill
	s_nop 0
	buffer_store_dword v15, off, s[28:31], 0 offset:388 ; 4-byte Folded Spill
	;; [unrolled: 4-line block ×5, first 2 shown]
	v_cvt_f32_i32_e32 v14, v33
	v_cvt_f32_i32_e32 v15, v37
	v_pk_fma_f32 v[80:81], v[50:51], v[32:33], v[16:17] op_sel_hi:[1,0,1]
	v_cvt_f16_f32_e32 v14, v14
	v_cvt_f16_f32_e32 v16, v15
	v_cvt_f32_f16_e32 v15, v14
	v_cvt_f32_f16_e32 v14, v16
	v_pk_fma_f32 v[0:1], v[14:15], v[48:49], v[0:1] op_sel_hi:[1,0,1]
	buffer_store_dword v0, off, s[28:31], 0 offset:368 ; 4-byte Folded Spill
	s_nop 0
	buffer_store_dword v1, off, s[28:31], 0 offset:372 ; 4-byte Folded Spill
	v_pk_fma_f32 v[0:1], v[14:15], v[30:31], v[2:3] op_sel_hi:[1,0,1]
	buffer_store_dword v0, off, s[28:31], 0 offset:360 ; 4-byte Folded Spill
	s_nop 0
	buffer_store_dword v1, off, s[28:31], 0 offset:364 ; 4-byte Folded Spill
	;; [unrolled: 4-line block ×6, first 2 shown]
	v_pk_fma_f32 v[0:1], v[14:15], v[46:47], v[12:13] op_sel_hi:[1,0,1]
	v_add_co_u32_e32 v4, vcc, s0, v28
	buffer_store_dword v0, off, s[28:31], 0 offset:312 ; 4-byte Folded Spill
	s_nop 0
	buffer_store_dword v1, off, s[28:31], 0 offset:316 ; 4-byte Folded Spill
	v_addc_co_u32_e32 v5, vcc, v29, v115, vcc
	v_add_co_u32_e32 v0, vcc, s0, v4
	v_addc_co_u32_e32 v1, vcc, v5, v115, vcc
	buffer_store_dword v0, off, s[28:31], 0 offset:304 ; 4-byte Folded Spill
	s_nop 0
	buffer_store_dword v1, off, s[28:31], 0 offset:308 ; 4-byte Folded Spill
	ds_read_b128 v[8:11], v122 offset:304
	s_waitcnt lgkmcnt(0)
	v_cvt_f32_f16_e32 v104, v8
	global_load_dwordx4 v[0:3], v[0:1], off
	s_waitcnt vmcnt(0)
	v_sub_u32_sdwa v33, v0, v123 dst_sel:DWORD dst_unused:UNUSED_PAD src0_sel:BYTE_0 src1_sel:DWORD
	v_sub_u32_sdwa v35, v1, v103 dst_sel:DWORD dst_unused:UNUSED_PAD src0_sel:BYTE_0 src1_sel:DWORD
	v_sub_u32_sdwa v34, v1, v103 dst_sel:DWORD dst_unused:UNUSED_PAD src0_sel:BYTE_1 src1_sel:DWORD
	v_sub_u32_sdwa v70, v0, v123 dst_sel:DWORD dst_unused:UNUSED_PAD src0_sel:BYTE_1 src1_sel:DWORD
	v_sub_u32_sdwa v119, v1, v103 dst_sel:DWORD dst_unused:UNUSED_PAD src0_sel:BYTE_2 src1_sel:DWORD
	v_sub_u32_sdwa v125, v0, v123 dst_sel:DWORD dst_unused:UNUSED_PAD src0_sel:BYTE_2 src1_sel:DWORD
	v_sub_u32_sdwa v71, v1, v103 dst_sel:DWORD dst_unused:UNUSED_PAD src0_sel:BYTE_3 src1_sel:DWORD
	v_sub_u32_sdwa v117, v0, v123 dst_sel:DWORD dst_unused:UNUSED_PAD src0_sel:BYTE_3 src1_sel:DWORD
	v_sub_u32_sdwa v111, v2, v95 dst_sel:DWORD dst_unused:UNUSED_PAD src0_sel:BYTE_0 src1_sel:DWORD
	v_sub_u32_sdwa v113, v3, v94 dst_sel:DWORD dst_unused:UNUSED_PAD src0_sel:BYTE_0 src1_sel:DWORD
	v_sub_u32_sdwa v107, v3, v94 dst_sel:DWORD dst_unused:UNUSED_PAD src0_sel:BYTE_1 src1_sel:DWORD
	v_sub_u32_sdwa v109, v2, v95 dst_sel:DWORD dst_unused:UNUSED_PAD src0_sel:BYTE_1 src1_sel:DWORD
	v_sub_u32_sdwa v45, v3, v94 dst_sel:DWORD dst_unused:UNUSED_PAD src0_sel:BYTE_2 src1_sel:DWORD
	v_sub_u32_sdwa v105, v2, v95 dst_sel:DWORD dst_unused:UNUSED_PAD src0_sel:BYTE_2 src1_sel:DWORD
	v_sub_u32_sdwa v47, v3, v94 dst_sel:DWORD dst_unused:UNUSED_PAD src0_sel:BYTE_3 src1_sel:DWORD
	v_sub_u32_sdwa v49, v2, v95 dst_sel:DWORD dst_unused:UNUSED_PAD src0_sel:BYTE_3 src1_sel:DWORD
	global_load_dwordx4 v[0:3], v[4:5], off
	s_waitcnt vmcnt(0)
	v_sub_u32_sdwa v118, v0, v123 dst_sel:DWORD dst_unused:UNUSED_PAD src0_sel:BYTE_2 src1_sel:DWORD
	v_sub_u32_sdwa v48, v0, v123 dst_sel:DWORD dst_unused:UNUSED_PAD src0_sel:BYTE_3 src1_sel:DWORD
	v_sub_u32_sdwa v4, v0, v123 dst_sel:DWORD dst_unused:UNUSED_PAD src0_sel:BYTE_0 src1_sel:DWORD
	v_sub_u32_sdwa v5, v0, v123 dst_sel:DWORD dst_unused:UNUSED_PAD src0_sel:BYTE_1 src1_sel:DWORD
	v_sub_u32_sdwa v0, v1, v103 dst_sel:DWORD dst_unused:UNUSED_PAD src0_sel:BYTE_0 src1_sel:DWORD
	v_sub_u32_sdwa v6, v1, v103 dst_sel:DWORD dst_unused:UNUSED_PAD src0_sel:BYTE_1 src1_sel:DWORD
	v_sub_u32_sdwa v123, v1, v103 dst_sel:DWORD dst_unused:UNUSED_PAD src0_sel:BYTE_2 src1_sel:DWORD
	v_sub_u32_sdwa v50, v1, v103 dst_sel:DWORD dst_unused:UNUSED_PAD src0_sel:BYTE_3 src1_sel:DWORD
	v_cvt_f32_i32_e32 v0, v0
	v_cvt_f32_i32_e32 v1, v4
	v_sub_u32_sdwa v52, v2, v95 dst_sel:DWORD dst_unused:UNUSED_PAD src0_sel:BYTE_2 src1_sel:DWORD
	v_sub_u32_sdwa v44, v2, v95 dst_sel:DWORD dst_unused:UNUSED_PAD src0_sel:BYTE_3 src1_sel:DWORD
	v_sub_u32_sdwa v127, v2, v95 dst_sel:DWORD dst_unused:UNUSED_PAD src0_sel:BYTE_0 src1_sel:DWORD
	v_sub_u32_sdwa v95, v2, v95 dst_sel:DWORD dst_unused:UNUSED_PAD src0_sel:BYTE_1 src1_sel:DWORD
	v_cvt_f16_f32_e32 v0, v0
	v_cvt_f16_f32_e32 v2, v1
	v_sub_u32_sdwa v32, v3, v94 dst_sel:DWORD dst_unused:UNUSED_PAD src0_sel:BYTE_0 src1_sel:DWORD
	v_sub_u32_sdwa v124, v3, v94 dst_sel:DWORD dst_unused:UNUSED_PAD src0_sel:BYTE_1 src1_sel:DWORD
	v_sub_u32_sdwa v53, v3, v94 dst_sel:DWORD dst_unused:UNUSED_PAD src0_sel:BYTE_2 src1_sel:DWORD
	v_sub_u32_sdwa v46, v3, v94 dst_sel:DWORD dst_unused:UNUSED_PAD src0_sel:BYTE_3 src1_sel:DWORD
	v_cvt_f32_f16_e32 v1, v0
	v_cvt_f32_f16_e32 v0, v2
	v_cvt_f32_i32_e32 v2, v6
	v_cvt_f32_i32_e32 v3, v5
	ds_read_b128 v[4:7], v122 offset:48
	v_pk_fma_f32 v[12:13], v[0:1], v[104:105], 0 op_sel_hi:[1,0,0]
	v_cvt_f16_f32_e32 v2, v2
	v_cvt_f16_f32_e32 v3, v3
	v_cvt_f32_i32_e32 v32, v32
	s_waitcnt lgkmcnt(0)
	v_cvt_f32_f16_e32 v108, v4
	v_cvt_f32_f16_e32 v93, v2
	;; [unrolled: 1-line block ×3, first 2 shown]
	v_cvt_f32_f16_sdwa v110, v4 dst_sel:DWORD dst_unused:UNUSED_PAD src0_sel:WORD_1
	v_cvt_f32_f16_sdwa v4, v8 dst_sel:DWORD dst_unused:UNUSED_PAD src0_sel:WORD_1
	v_cvt_f32_i32_e32 v36, v127
	v_cvt_f16_f32_e32 v32, v32
	v_pk_fma_f32 v[2:3], v[0:1], v[108:109], 0 op_sel_hi:[1,0,0]
	v_pk_fma_f32 v[54:55], v[92:93], v[4:5], v[12:13] op_sel_hi:[1,0,1]
	ds_read_b128 v[12:15], v122 offset:560
	v_cvt_f16_f32_e32 v36, v36
	v_pk_fma_f32 v[2:3], v[92:93], v[110:111], v[2:3] op_sel_hi:[1,0,1]
	s_waitcnt lgkmcnt(0)
	v_cvt_f32_f16_e32 v106, v12
	v_cvt_f32_f16_sdwa v8, v12 dst_sel:DWORD dst_unused:UNUSED_PAD src0_sel:WORD_1
	v_pk_fma_f32 v[16:17], v[0:1], v[106:107], 0 op_sel_hi:[1,0,0]
	v_pk_fma_f32 v[96:97], v[92:93], v[8:9], v[16:17] op_sel_hi:[1,0,1]
	ds_read_b128 v[16:19], v122 offset:816
	s_waitcnt lgkmcnt(0)
	v_cvt_f32_f16_e32 v112, v16
	v_cvt_f32_f16_sdwa v12, v16 dst_sel:DWORD dst_unused:UNUSED_PAD src0_sel:WORD_1
	v_pk_fma_f32 v[20:21], v[0:1], v[112:113], 0 op_sel_hi:[1,0,0]
	v_pk_fma_f32 v[98:99], v[92:93], v[12:13], v[20:21] op_sel_hi:[1,0,1]
	ds_read_b128 v[20:23], v122 offset:1072
	s_waitcnt lgkmcnt(0)
	v_cvt_f32_f16_e32 v114, v20
	v_cvt_f32_f16_sdwa v16, v20 dst_sel:DWORD dst_unused:UNUSED_PAD src0_sel:WORD_1
	v_pk_fma_f32 v[24:25], v[0:1], v[114:115], 0 op_sel_hi:[1,0,0]
	v_pk_fma_f32 v[100:101], v[92:93], v[16:17], v[24:25] op_sel_hi:[1,0,1]
	ds_read_b128 v[24:27], v122 offset:1328
	s_waitcnt lgkmcnt(0)
	v_cvt_f32_f16_e32 v116, v24
	v_cvt_f32_f16_sdwa v20, v24 dst_sel:DWORD dst_unused:UNUSED_PAD src0_sel:WORD_1
	v_pk_fma_f32 v[28:29], v[0:1], v[116:117], 0 op_sel_hi:[1,0,0]
	v_pk_fma_f32 v[102:103], v[92:93], v[20:21], v[28:29] op_sel_hi:[1,0,1]
	ds_read_b128 v[28:31], v122 offset:1584
	v_cvt_f32_f16_sdwa v122, v14 dst_sel:DWORD dst_unused:UNUSED_PAD src0_sel:WORD_1
	s_waitcnt lgkmcnt(0)
	v_cvt_f32_f16_e32 v24, v28
	v_cvt_f32_f16_sdwa v28, v28 dst_sel:DWORD dst_unused:UNUSED_PAD src0_sel:WORD_1
	v_cvt_f32_f16_e32 v62, v31
	v_pk_fma_f32 v[0:1], v[0:1], v[24:25], 0 op_sel_hi:[1,0,0]
	v_pk_fma_f32 v[0:1], v[92:93], v[28:29], v[0:1] op_sel_hi:[1,0,1]
	v_cvt_f32_f16_e32 v93, v32
	v_cvt_f32_f16_e32 v92, v36
	v_cvt_f32_i32_e32 v32, v124
	v_cvt_f32_i32_e32 v36, v95
	v_cvt_f32_f16_e32 v124, v15
	v_pk_fma_f32 v[60:61], v[92:93], v[104:105], 0 op_sel_hi:[1,0,0]
	v_cvt_f16_f32_e32 v32, v32
	v_cvt_f16_f32_e32 v36, v36
	v_pk_fma_f32 v[58:59], v[92:93], v[106:107], 0 op_sel_hi:[1,0,0]
	v_pk_fma_f32 v[126:127], v[92:93], v[108:109], 0 op_sel_hi:[1,0,0]
	v_cvt_f32_f16_e32 v95, v32
	v_cvt_f32_f16_e32 v94, v36
	v_cvt_f32_i32_e32 v32, v52
	v_cvt_f32_i32_e32 v36, v53
	v_pk_fma_f32 v[56:57], v[92:93], v[112:113], 0 op_sel_hi:[1,0,0]
	v_pk_fma_f32 v[60:61], v[94:95], v[4:5], v[60:61] op_sel_hi:[1,0,1]
	;; [unrolled: 1-line block ×3, first 2 shown]
	v_cvt_f32_i32_e32 v4, v123
	v_cvt_f32_i32_e32 v8, v118
	v_cvt_f16_f32_e32 v32, v32
	v_cvt_f16_f32_e32 v36, v36
	;; [unrolled: 1-line block ×4, first 2 shown]
	v_pk_fma_f32 v[42:43], v[92:93], v[114:115], 0 op_sel_hi:[1,0,0]
	v_pk_fma_f32 v[40:41], v[92:93], v[116:117], 0 op_sel_hi:[1,0,0]
	;; [unrolled: 1-line block ×8, first 2 shown]
	v_cvt_f32_f16_e32 v95, v4
	v_cvt_f32_f16_e32 v94, v8
	;; [unrolled: 1-line block ×11, first 2 shown]
	v_pk_fma_f32 v[2:3], v[94:95], v[4:5], v[2:3] op_sel_hi:[1,0,1]
	v_pk_fma_f32 v[54:55], v[94:95], v[8:9], v[54:55] op_sel_hi:[1,0,1]
	;; [unrolled: 1-line block ×9, first 2 shown]
	v_cvt_f32_i32_e32 v4, v50
	v_cvt_f32_i32_e32 v8, v48
	v_pk_fma_f32 v[58:59], v[52:53], v[12:13], v[58:59] op_sel_hi:[1,0,1]
	v_pk_fma_f32 v[56:57], v[52:53], v[16:17], v[56:57] op_sel_hi:[1,0,1]
	v_cvt_f16_f32_e32 v4, v4
	v_cvt_f16_f32_e32 v8, v8
	v_pk_fma_f32 v[42:43], v[52:53], v[20:21], v[42:43] op_sel_hi:[1,0,1]
	v_pk_fma_f32 v[40:41], v[52:53], v[24:25], v[40:41] op_sel_hi:[1,0,1]
	;; [unrolled: 1-line block ×3, first 2 shown]
	v_cvt_f32_f16_e32 v93, v4
	v_cvt_f32_f16_e32 v92, v8
	v_cvt_f32_f16_sdwa v4, v5 dst_sel:DWORD dst_unused:UNUSED_PAD src0_sel:WORD_1
	v_cvt_f32_f16_sdwa v48, v29 dst_sel:DWORD dst_unused:UNUSED_PAD src0_sel:WORD_1
	;; [unrolled: 1-line block ×4, first 2 shown]
	v_pk_fma_f32 v[126:127], v[92:93], v[4:5], v[2:3] op_sel_hi:[1,0,1]
	v_cvt_f32_f16_sdwa v2, v9 dst_sel:DWORD dst_unused:UNUSED_PAD src0_sel:WORD_1
	v_pk_fma_f32 v[68:69], v[92:93], v[48:49], v[0:1] op_sel_hi:[1,0,1]
	v_cvt_f32_i32_e32 v0, v46
	v_cvt_f32_i32_e32 v1, v44
	v_pk_fma_f32 v[36:37], v[92:93], v[2:3], v[54:55] op_sel_hi:[1,0,1]
	v_cvt_f32_f16_sdwa v16, v17 dst_sel:DWORD dst_unused:UNUSED_PAD src0_sel:WORD_1
	v_cvt_f16_f32_e32 v0, v0
	v_cvt_f16_f32_e32 v3, v1
	v_cvt_f32_f16_sdwa v28, v21 dst_sel:DWORD dst_unused:UNUSED_PAD src0_sel:WORD_1
	v_pk_fma_f32 v[12:13], v[92:93], v[8:9], v[96:97] op_sel_hi:[1,0,1]
	v_cvt_f32_f16_e32 v1, v0
	v_cvt_f32_f16_e32 v0, v3
	v_pk_fma_f32 v[38:39], v[92:93], v[16:17], v[98:99] op_sel_hi:[1,0,1]
	v_pk_fma_f32 v[64:65], v[92:93], v[28:29], v[100:101] op_sel_hi:[1,0,1]
	;; [unrolled: 1-line block ×5, first 2 shown]
	buffer_store_dword v2, off, s[28:31], 0 offset:432 ; 4-byte Folded Spill
	s_nop 0
	buffer_store_dword v3, off, s[28:31], 0 offset:436 ; 4-byte Folded Spill
	v_cvt_f32_f16_e32 v2, v30
	v_pk_fma_f32 v[94:95], v[0:1], v[4:5], v[94:95] op_sel_hi:[1,0,1]
	v_pk_fma_f32 v[96:97], v[0:1], v[8:9], v[58:59] op_sel_hi:[1,0,1]
	;; [unrolled: 1-line block ×5, first 2 shown]
	buffer_store_dword v0, off, s[28:31], 0 offset:416 ; 4-byte Folded Spill
	s_nop 0
	buffer_store_dword v1, off, s[28:31], 0 offset:420 ; 4-byte Folded Spill
	buffer_store_dword v2, off, s[28:31], 0 offset:424 ; 4-byte Folded Spill
	s_nop 0
	buffer_store_dword v3, off, s[28:31], 0 offset:428 ; 4-byte Folded Spill
	v_cvt_f32_i32_e32 v0, v35
	v_cvt_f32_i32_e32 v1, v33
	v_cvt_f32_f16_e32 v44, v10
	v_cvt_f32_f16_sdwa v42, v10 dst_sel:DWORD dst_unused:UNUSED_PAD src0_sel:WORD_1
	v_cvt_f16_f32_e32 v0, v0
	v_cvt_f16_f32_e32 v1, v1
	v_cvt_f32_f16_e32 v40, v11
	v_cvt_f32_f16_sdwa v24, v11 dst_sel:DWORD dst_unused:UNUSED_PAD src0_sel:WORD_1
	v_cvt_f32_f16_e32 v11, v0
	v_cvt_f32_f16_e32 v10, v1
	v_cvt_f32_i32_e32 v0, v34
	v_cvt_f32_i32_e32 v1, v70
	v_cvt_f32_f16_e32 v16, v6
	v_cvt_f32_f16_e32 v20, v14
	v_cvt_f16_f32_e32 v0, v0
	v_cvt_f16_f32_e32 v1, v1
	v_cvt_f32_f16_e32 v116, v18
	v_cvt_f32_f16_e32 v108, v22
	v_cvt_f32_f16_e32 v35, v0
	v_cvt_f32_f16_e32 v34, v1
	v_cvt_f32_i32_e32 v0, v119
	v_cvt_f32_i32_e32 v1, v125
	v_cvt_f32_f16_e32 v102, v26
	v_cvt_f32_f16_sdwa v56, v6 dst_sel:DWORD dst_unused:UNUSED_PAD src0_sel:WORD_1
	v_cvt_f32_f16_sdwa v114, v18 dst_sel:DWORD dst_unused:UNUSED_PAD src0_sel:WORD_1
	;; [unrolled: 1-line block ×5, first 2 shown]
	v_cvt_f16_f32_e32 v0, v0
	v_cvt_f16_f32_e32 v1, v1
	v_cvt_f32_f16_sdwa v118, v15 dst_sel:DWORD dst_unused:UNUSED_PAD src0_sel:WORD_1
	v_cvt_f32_f16_e32 v98, v27
	v_cvt_f32_f16_sdwa v18, v27 dst_sel:DWORD dst_unused:UNUSED_PAD src0_sel:WORD_1
	v_cvt_f32_f16_sdwa v52, v31 dst_sel:DWORD dst_unused:UNUSED_PAD src0_sel:WORD_1
	v_pk_fma_f32 v[14:15], v[10:11], v[16:17], v[126:127] op_sel_hi:[1,0,1]
	v_pk_fma_f32 v[26:27], v[10:11], v[44:45], v[36:37] op_sel_hi:[1,0,1]
	;; [unrolled: 1-line block ×12, first 2 shown]
	v_cvt_f32_f16_e32 v60, v7
	v_cvt_f32_f16_e32 v112, v19
	;; [unrolled: 1-line block ×3, first 2 shown]
	v_cvt_f32_f16_sdwa v46, v23 dst_sel:DWORD dst_unused:UNUSED_PAD src0_sel:WORD_1
	buffer_load_dword v22, off, s[28:31], 0 offset:56 ; 4-byte Folded Reload
	buffer_load_dword v23, off, s[28:31], 0 offset:60 ; 4-byte Folded Reload
	v_cvt_f32_f16_sdwa v28, v7 dst_sel:DWORD dst_unused:UNUSED_PAD src0_sel:WORD_1
	v_cvt_f32_f16_sdwa v110, v19 dst_sel:DWORD dst_unused:UNUSED_PAD src0_sel:WORD_1
	v_pk_fma_f32 v[10:11], v[10:11], v[2:3], v[68:69] op_sel_hi:[1,0,1]
	v_pk_fma_f32 v[10:11], v[34:35], v[48:49], v[10:11] op_sel_hi:[1,0,1]
	v_cvt_f32_f16_e32 v35, v0
	v_cvt_f32_f16_e32 v34, v1
	v_cvt_f32_i32_e32 v0, v71
	v_cvt_f32_i32_e32 v1, v117
	v_pk_fma_f32 v[14:15], v[34:35], v[60:61], v[14:15] op_sel_hi:[1,0,1]
	v_cvt_f16_f32_e32 v0, v0
	v_cvt_f16_f32_e32 v1, v1
	v_pk_fma_f32 v[26:27], v[34:35], v[40:41], v[26:27] op_sel_hi:[1,0,1]
	v_pk_fma_f32 v[12:13], v[34:35], v[124:125], v[12:13] op_sel_hi:[1,0,1]
	;; [unrolled: 1-line block ×6, first 2 shown]
	v_cvt_f32_f16_e32 v35, v0
	v_cvt_f32_f16_e32 v34, v1
	buffer_load_dword v0, off, s[28:31], 0 offset:168 ; 4-byte Folded Reload
	buffer_load_dword v1, off, s[28:31], 0 offset:172 ; 4-byte Folded Reload
	v_pk_fma_f32 v[14:15], v[34:35], v[28:29], v[14:15] op_sel_hi:[1,0,1]
	v_pk_fma_f32 v[26:27], v[34:35], v[24:25], v[26:27] op_sel_hi:[1,0,1]
	;; [unrolled: 1-line block ×7, first 2 shown]
	s_waitcnt vmcnt(3)
	v_cvt_f32_f16_sdwa v67, v22 dst_sel:DWORD dst_unused:UNUSED_PAD src0_sel:WORD_1
	v_cvt_f32_f16_e32 v66, v22
	v_pk_mul_f32 v[4:5], v[80:81], v[66:67]
	v_pk_mul_f32 v[2:3], v[78:79], v[66:67]
	v_pk_mul_f32 v[120:121], v[120:121], v[66:67]
	v_pk_mul_f32 v[58:59], v[14:15], v[66:67]
	v_pk_mul_f32 v[26:27], v[26:27], v[66:67]
	v_pk_mul_f32 v[36:37], v[12:13], v[66:67]
	v_pk_mul_f32 v[38:39], v[38:39], v[66:67]
	v_pk_mul_f32 v[32:33], v[32:33], v[66:67]
	v_pk_mul_f32 v[64:65], v[64:65], v[66:67]
	v_cvt_f32_i32_e32 v13, v109
	v_cvt_f16_f32_e32 v2, v2
	v_cvt_f16_f32_e32 v4, v4
	v_cvt_f16_f32_e32 v27, v27
	v_cvt_f16_f32_e32 v26, v26
	v_cvt_f16_f32_e32 v53, v120
	s_waitcnt vmcnt(0)
	v_pk_mul_f32 v[68:69], v[0:1], v[66:67]
	buffer_load_dword v0, off, s[28:31], 0 offset:176 ; 4-byte Folded Reload
	buffer_load_dword v1, off, s[28:31], 0 offset:180 ; 4-byte Folded Reload
	s_waitcnt vmcnt(0)
	v_pk_mul_f32 v[126:127], v[0:1], v[66:67]
	buffer_load_dword v0, off, s[28:31], 0 offset:272 ; 4-byte Folded Reload
	buffer_load_dword v1, off, s[28:31], 0 offset:276 ; 4-byte Folded Reload
	;; [unrolled: 4-line block ×12, first 2 shown]
	buffer_load_dword v6, off, s[28:31], 0 offset:376 ; 4-byte Folded Reload
	buffer_load_dword v7, off, s[28:31], 0 offset:380 ; 4-byte Folded Reload
	;; [unrolled: 1-line block ×6, first 2 shown]
	v_cvt_f16_f32_e32 v35, v35
	v_cvt_f16_f32_e32 v34, v34
	v_pack_b32_f16 v34, v34, v35
	s_waitcnt vmcnt(6)
	v_pk_mul_f32 v[0:1], v[0:1], v[66:67]
	s_waitcnt vmcnt(4)
	v_pk_mul_f32 v[6:7], v[6:7], v[66:67]
	;; [unrolled: 2-line block ×4, first 2 shown]
	buffer_load_dword v30, off, s[28:31], 0 offset:400 ; 4-byte Folded Reload
	buffer_load_dword v31, off, s[28:31], 0 offset:404 ; 4-byte Folded Reload
	v_cvt_f16_f32_e32 v1, v1
	v_cvt_f16_f32_e32 v0, v0
	v_pack_b32_f16 v0, v0, v1
	v_cvt_f16_f32_e32 v1, v3
	v_cvt_f16_f32_e32 v3, v5
	s_waitcnt vmcnt(0)
	v_pk_mul_f32 v[78:79], v[30:31], v[66:67]
	buffer_load_dword v30, off, s[28:31], 0 offset:408 ; 4-byte Folded Reload
	buffer_load_dword v31, off, s[28:31], 0 offset:412 ; 4-byte Folded Reload
	s_waitcnt vmcnt(0)
	v_pk_mul_f32 v[30:31], v[30:31], v[66:67]
	v_pk_mul_f32 v[66:67], v[10:11], v[66:67]
	v_cvt_f32_i32_e32 v10, v113
	v_cvt_f32_i32_e32 v11, v111
	v_cvt_f16_f32_e32 v10, v10
	v_cvt_f16_f32_e32 v12, v11
	v_cvt_f32_f16_e32 v11, v10
	v_cvt_f32_f16_e32 v10, v12
	v_cvt_f32_i32_e32 v12, v107
	v_pk_fma_f32 v[14:15], v[10:11], v[16:17], v[94:95] op_sel_hi:[1,0,1]
	v_cvt_f16_f32_e32 v12, v12
	v_cvt_f16_f32_e32 v16, v13
	v_pk_fma_f32 v[20:21], v[10:11], v[20:21], v[96:97] op_sel_hi:[1,0,1]
	v_cvt_f32_f16_e32 v13, v12
	v_cvt_f32_f16_e32 v12, v16
	v_pk_fma_f32 v[16:17], v[12:13], v[56:57], v[14:15] op_sel_hi:[1,0,1]
	v_cvt_f32_i32_e32 v14, v45
	v_cvt_f32_i32_e32 v15, v105
	v_pk_fma_f32 v[44:45], v[10:11], v[44:45], v[50:51] op_sel_hi:[1,0,1]
	v_pk_fma_f32 v[42:43], v[12:13], v[42:43], v[44:45] op_sel_hi:[1,0,1]
	v_cvt_f16_f32_e32 v14, v14
	v_cvt_f16_f32_e32 v19, v15
	;; [unrolled: 1-line block ×4, first 2 shown]
	v_cvt_f32_f16_e32 v15, v14
	v_cvt_f32_f16_e32 v14, v19
	v_cvt_f16_f32_e32 v50, v84
	v_cvt_f16_f32_e32 v51, v88
	v_pk_fma_f32 v[20:21], v[12:13], v[122:123], v[20:21] op_sel_hi:[1,0,1]
	v_pk_fma_f32 v[56:57], v[14:15], v[60:61], v[16:17] op_sel_hi:[1,0,1]
	v_cvt_f32_i32_e32 v16, v47
	v_cvt_f32_i32_e32 v17, v49
	v_pk_fma_f32 v[40:41], v[14:15], v[40:41], v[42:43] op_sel_hi:[1,0,1]
	v_pk_fma_f32 v[42:43], v[10:11], v[108:109], v[92:93] op_sel_hi:[1,0,1]
	v_cvt_f16_f32_e32 v16, v16
	v_cvt_f16_f32_e32 v19, v17
	v_pk_fma_f32 v[42:43], v[12:13], v[106:107], v[42:43] op_sel_hi:[1,0,1]
	v_pk_fma_f32 v[42:43], v[14:15], v[104:105], v[42:43] op_sel_hi:[1,0,1]
	v_cvt_f32_f16_e32 v17, v16
	v_cvt_f32_f16_e32 v16, v19
	v_pk_fma_f32 v[20:21], v[14:15], v[124:125], v[20:21] op_sel_hi:[1,0,1]
	v_pk_fma_f32 v[28:29], v[16:17], v[28:29], v[56:57] op_sel_hi:[1,0,1]
	;; [unrolled: 1-line block ×3, first 2 shown]
	buffer_load_dword v42, off, s[28:31], 0 offset:432 ; 4-byte Folded Reload
	buffer_load_dword v43, off, s[28:31], 0 offset:436 ; 4-byte Folded Reload
	;; [unrolled: 1-line block ×4, first 2 shown]
	v_cvt_f16_f32_e32 v46, v73
	v_cvt_f16_f32_e32 v47, v72
	v_pk_fma_f32 v[24:25], v[16:17], v[24:25], v[40:41] op_sel_hi:[1,0,1]
	v_pk_fma_f32 v[40:41], v[16:17], v[118:119], v[20:21] op_sel_hi:[1,0,1]
	;; [unrolled: 1-line block ×6, first 2 shown]
	s_waitcnt vmcnt(2)
	v_pk_fma_f32 v[42:43], v[10:11], v[102:103], v[42:43] op_sel_hi:[1,0,1]
	v_pk_fma_f32 v[42:43], v[12:13], v[100:101], v[42:43] op_sel_hi:[1,0,1]
	;; [unrolled: 1-line block ×4, first 2 shown]
	v_cvt_f16_f32_e32 v42, v69
	v_cvt_f16_f32_e32 v43, v68
	s_waitcnt vmcnt(0)
	v_pk_add_f16 v34, v35, v34
	v_pk_add_f16 v5, v34, v0
	v_pack_b32_f16 v0, v2, v1
	v_pack_b32_f16 v42, v43, v42
	buffer_load_dword v43, off, s[28:31], 0 offset:52 ; 4-byte Folded Reload
	v_cvt_f16_f32_e32 v1, v7
	v_cvt_f16_f32_e32 v34, v30
	v_cvt_f32_f16_e32 v30, v23
	s_waitcnt vmcnt(0)
	v_pk_add_f16 v42, v43, v42
	v_pack_b32_f16 v43, v45, v44
	v_cvt_f16_f32_e32 v44, v71
	v_cvt_f16_f32_e32 v45, v70
	v_pk_add_f16 v43, v49, v43
	v_cvt_f16_f32_e32 v49, v76
	v_pack_b32_f16 v44, v45, v44
	v_pk_add_f16 v42, v42, v44
	v_pack_b32_f16 v44, v47, v46
	v_cvt_f16_f32_e32 v45, v75
	v_cvt_f16_f32_e32 v46, v74
	v_pk_add_f16 v43, v43, v44
	v_cvt_f16_f32_e32 v47, v77
	v_pk_add_f16 v2, v42, v0
	v_pack_b32_f16 v44, v46, v45
	buffer_load_dword v45, off, s[28:31], 0 offset:44 ; 4-byte Folded Reload
	v_cvt_f16_f32_e32 v46, v83
	v_pack_b32_f16 v0, v4, v3
	v_cvt_f16_f32_e32 v3, v6
	v_cvt_f16_f32_e32 v4, v9
	;; [unrolled: 1-line block ×4, first 2 shown]
	s_waitcnt vmcnt(0)
	v_pk_add_f16 v44, v45, v44
	v_pack_b32_f16 v45, v49, v47
	v_cvt_f16_f32_e32 v47, v82
	v_pk_add_f16 v44, v44, v45
	v_cvt_f16_f32_e32 v49, v85
	v_pk_add_f16 v7, v44, v0
	v_pack_b32_f16 v45, v47, v46
	buffer_load_dword v46, off, s[28:31], 0 offset:36 ; 4-byte Folded Reload
	v_cvt_f16_f32_e32 v47, v87
	v_pack_b32_f16 v0, v3, v1
	v_cvt_f16_f32_e32 v1, v81
	s_waitcnt vmcnt(0)
	v_pk_add_f16 v45, v46, v45
	v_pack_b32_f16 v46, v50, v49
	v_cvt_f16_f32_e32 v49, v86
	v_pk_add_f16 v45, v45, v46
	v_cvt_f16_f32_e32 v50, v89
	v_pk_add_f16 v3, v45, v0
	v_pack_b32_f16 v46, v49, v47
	buffer_load_dword v47, off, s[28:31], 0 offset:28 ; 4-byte Folded Reload
	v_pack_b32_f16 v0, v6, v4
	v_cvt_f16_f32_e32 v4, v80
	v_cvt_f16_f32_e32 v49, v91
	v_pk_add_f16 v9, v43, v0
	v_cvt_f16_f32_e32 v6, v79
	v_pack_b32_f16 v0, v4, v1
	v_pack_b32_f16 v6, v8, v6
	v_cvt_f16_f32_e32 v8, v31
	v_cvt_f32_f16_sdwa v31, v23 dst_sel:DWORD dst_unused:UNUSED_PAD src0_sel:WORD_1
	v_pack_b32_f16 v8, v34, v8
	v_pk_add_f16 v5, v5, v8
	v_cvt_f16_f32_e32 v8, v58
	s_waitcnt vmcnt(0)
	v_pk_add_f16 v46, v47, v46
	v_pack_b32_f16 v47, v51, v50
	v_cvt_f16_f32_e32 v50, v90
	v_pk_add_f16 v46, v46, v47
	v_pk_add_f16 v4, v46, v0
	v_cvt_f16_f32_e32 v51, v121
	v_pack_b32_f16 v47, v50, v49
	buffer_load_dword v49, off, s[28:31], 0 offset:20 ; 4-byte Folded Reload
	buffer_load_dword v0, off, s[28:31], 0 offset:120 ; 4-byte Folded Reload
	;; [unrolled: 1-line block ×4, first 2 shown]
	s_waitcnt vmcnt(3)
	v_pk_add_f16 v47, v49, v47
	s_waitcnt vmcnt(1)
	v_pk_mul_f32 v[0:1], v[0:1], v[30:31]
	v_cvt_f16_f32_e32 v1, v1
	v_cvt_f16_f32_e32 v0, v0
	v_pack_b32_f16 v49, v53, v51
	v_pk_add_f16 v47, v47, v49
	v_pk_add_f16 v6, v47, v6
	v_pack_b32_f16 v0, v0, v1
	v_cvt_f16_f32_e32 v1, v59
	s_waitcnt vmcnt(0)
	v_pk_add_f16 v34, v34, v0
	v_pack_b32_f16 v0, v8, v1
	v_pk_add_f16 v42, v2, v0
	v_cvt_f16_f32_e32 v1, v37
	v_cvt_f16_f32_e32 v2, v36
	v_pack_b32_f16 v0, v26, v27
	v_cvt_f16_f32_e32 v8, v39
	v_cvt_f16_f32_e32 v26, v38
	v_pk_add_f16 v38, v7, v0
	v_pack_b32_f16 v0, v2, v1
	v_cvt_f16_f32_e32 v1, v33
	v_cvt_f16_f32_e32 v2, v32
	v_pk_add_f16 v37, v3, v0
	v_pack_b32_f16 v0, v26, v8
	v_pk_add_f16 v36, v4, v0
	v_pack_b32_f16 v0, v2, v1
	v_pk_add_f16 v35, v6, v0
	buffer_load_dword v0, off, s[28:31], 0 offset:232 ; 4-byte Folded Reload
	buffer_load_dword v1, off, s[28:31], 0 offset:236 ; 4-byte Folded Reload
	v_cvt_f16_f32_e32 v3, v65
	v_cvt_f16_f32_e32 v7, v64
	v_cvt_f16_f32_e32 v4, v66
	v_pack_b32_f16 v2, v7, v3
	v_cvt_f16_f32_e32 v3, v67
	v_pk_add_f16 v33, v5, v2
	v_pack_b32_f16 v2, v4, v3
	v_pk_add_f16 v32, v9, v2
	s_waitcnt vmcnt(0)
	v_pk_mul_f32 v[0:1], v[0:1], v[30:31]
	v_cvt_f16_f32_e32 v1, v1
	v_cvt_f16_f32_e32 v0, v0
	v_pack_b32_f16 v2, v0, v1
	buffer_load_dword v0, off, s[28:31], 0 offset:368 ; 4-byte Folded Reload
	buffer_load_dword v1, off, s[28:31], 0 offset:372 ; 4-byte Folded Reload
	v_pk_add_f16 v2, v34, v2
	s_waitcnt vmcnt(0)
	v_pk_mul_f32 v[0:1], v[0:1], v[30:31]
	v_cvt_f16_f32_e32 v3, v1
	v_cvt_f16_f32_e32 v4, v0
	buffer_load_dword v0, off, s[28:31], 0 offset:112 ; 4-byte Folded Reload
	buffer_load_dword v1, off, s[28:31], 0 offset:116 ; 4-byte Folded Reload
	v_pack_b32_f16 v3, v4, v3
	v_pk_add_f16 v2, v2, v3
	s_waitcnt vmcnt(0)
	v_pk_mul_f32 v[0:1], v[0:1], v[30:31]
	v_cvt_f16_f32_e32 v1, v1
	v_cvt_f16_f32_e32 v0, v0
	v_pack_b32_f16 v3, v0, v1
	buffer_load_dword v0, off, s[28:31], 0 offset:224 ; 4-byte Folded Reload
	buffer_load_dword v1, off, s[28:31], 0 offset:228 ; 4-byte Folded Reload
	s_waitcnt vmcnt(0)
	v_pk_mul_f32 v[0:1], v[0:1], v[30:31]
	v_cvt_f16_f32_e32 v4, v1
	v_cvt_f16_f32_e32 v5, v0
	buffer_load_dword v0, off, s[28:31], 0 offset:360 ; 4-byte Folded Reload
	buffer_load_dword v1, off, s[28:31], 0 offset:364 ; 4-byte Folded Reload
	;; [unrolled: 1-line block ×3, first 2 shown]
	v_pack_b32_f16 v4, v5, v4
	s_waitcnt vmcnt(1)
	v_pk_mul_f32 v[0:1], v[0:1], v[30:31]
	v_cvt_f16_f32_e32 v1, v1
	v_cvt_f16_f32_e32 v0, v0
	s_waitcnt vmcnt(0)
	v_pk_add_f16 v3, v6, v3
	v_pk_add_f16 v3, v3, v4
	v_pack_b32_f16 v4, v0, v1
	buffer_load_dword v0, off, s[28:31], 0 offset:104 ; 4-byte Folded Reload
	buffer_load_dword v1, off, s[28:31], 0 offset:108 ; 4-byte Folded Reload
	v_pk_add_f16 v3, v3, v4
	s_waitcnt vmcnt(0)
	v_pk_mul_f32 v[0:1], v[0:1], v[30:31]
	v_cvt_f16_f32_e32 v5, v1
	v_cvt_f16_f32_e32 v6, v0
	buffer_load_dword v0, off, s[28:31], 0 offset:216 ; 4-byte Folded Reload
	buffer_load_dword v1, off, s[28:31], 0 offset:220 ; 4-byte Folded Reload
	v_pack_b32_f16 v4, v6, v5
	buffer_load_dword v5, off, s[28:31], 0 offset:40 ; 4-byte Folded Reload
	s_waitcnt vmcnt(1)
	v_pk_mul_f32 v[0:1], v[0:1], v[30:31]
	v_cvt_f16_f32_e32 v1, v1
	v_cvt_f16_f32_e32 v0, v0
	s_waitcnt vmcnt(0)
	v_pk_add_f16 v4, v5, v4
	v_pack_b32_f16 v5, v0, v1
	buffer_load_dword v0, off, s[28:31], 0 offset:352 ; 4-byte Folded Reload
	buffer_load_dword v1, off, s[28:31], 0 offset:356 ; 4-byte Folded Reload
	v_pk_add_f16 v4, v4, v5
	s_waitcnt vmcnt(0)
	v_pk_mul_f32 v[0:1], v[0:1], v[30:31]
	v_cvt_f16_f32_e32 v6, v1
	v_cvt_f16_f32_e32 v7, v0
	buffer_load_dword v0, off, s[28:31], 0 offset:96 ; 4-byte Folded Reload
	buffer_load_dword v1, off, s[28:31], 0 offset:100 ; 4-byte Folded Reload
	v_pack_b32_f16 v5, v7, v6
	v_pk_add_f16 v4, v4, v5
	s_waitcnt vmcnt(0)
	v_pk_mul_f32 v[0:1], v[0:1], v[30:31]
	v_cvt_f16_f32_e32 v1, v1
	v_cvt_f16_f32_e32 v0, v0
	v_pack_b32_f16 v5, v0, v1
	buffer_load_dword v0, off, s[28:31], 0 offset:208 ; 4-byte Folded Reload
	buffer_load_dword v1, off, s[28:31], 0 offset:212 ; 4-byte Folded Reload
	s_waitcnt vmcnt(0)
	v_pk_mul_f32 v[0:1], v[0:1], v[30:31]
	v_cvt_f16_f32_e32 v6, v1
	v_cvt_f16_f32_e32 v7, v0
	buffer_load_dword v0, off, s[28:31], 0 offset:344 ; 4-byte Folded Reload
	buffer_load_dword v1, off, s[28:31], 0 offset:348 ; 4-byte Folded Reload
	;; [unrolled: 1-line block ×3, first 2 shown]
	v_pack_b32_f16 v6, v7, v6
	s_waitcnt vmcnt(1)
	v_pk_mul_f32 v[0:1], v[0:1], v[30:31]
	v_cvt_f16_f32_e32 v1, v1
	v_cvt_f16_f32_e32 v0, v0
	s_waitcnt vmcnt(0)
	v_pk_add_f16 v5, v8, v5
	v_pk_add_f16 v5, v5, v6
	v_pack_b32_f16 v6, v0, v1
	buffer_load_dword v0, off, s[28:31], 0 offset:88 ; 4-byte Folded Reload
	buffer_load_dword v1, off, s[28:31], 0 offset:92 ; 4-byte Folded Reload
	v_pk_add_f16 v5, v5, v6
	s_waitcnt vmcnt(0)
	v_pk_mul_f32 v[0:1], v[0:1], v[30:31]
	v_cvt_f16_f32_e32 v7, v1
	v_cvt_f16_f32_e32 v8, v0
	buffer_load_dword v0, off, s[28:31], 0 offset:200 ; 4-byte Folded Reload
	buffer_load_dword v1, off, s[28:31], 0 offset:204 ; 4-byte Folded Reload
	v_pack_b32_f16 v6, v8, v7
	buffer_load_dword v7, off, s[28:31], 0 offset:24 ; 4-byte Folded Reload
	s_waitcnt vmcnt(1)
	v_pk_mul_f32 v[0:1], v[0:1], v[30:31]
	v_cvt_f16_f32_e32 v1, v1
	v_cvt_f16_f32_e32 v0, v0
	s_waitcnt vmcnt(0)
	v_pk_add_f16 v6, v7, v6
	v_pack_b32_f16 v7, v0, v1
	buffer_load_dword v0, off, s[28:31], 0 offset:328 ; 4-byte Folded Reload
	buffer_load_dword v1, off, s[28:31], 0 offset:332 ; 4-byte Folded Reload
	v_pk_add_f16 v6, v6, v7
	s_waitcnt vmcnt(0)
	v_pk_mul_f32 v[0:1], v[0:1], v[30:31]
	v_cvt_f16_f32_e32 v8, v1
	v_cvt_f16_f32_e32 v9, v0
	buffer_load_dword v0, off, s[28:31], 0 offset:72 ; 4-byte Folded Reload
	buffer_load_dword v1, off, s[28:31], 0 offset:76 ; 4-byte Folded Reload
	v_pack_b32_f16 v7, v9, v8
	v_pk_add_f16 v6, v6, v7
	s_waitcnt vmcnt(0)
	v_pk_mul_f32 v[0:1], v[0:1], v[30:31]
	v_cvt_f16_f32_e32 v1, v1
	v_cvt_f16_f32_e32 v0, v0
	v_pack_b32_f16 v7, v0, v1
	buffer_load_dword v0, off, s[28:31], 0 offset:192 ; 4-byte Folded Reload
	buffer_load_dword v1, off, s[28:31], 0 offset:196 ; 4-byte Folded Reload
	s_waitcnt vmcnt(0)
	v_pk_mul_f32 v[0:1], v[0:1], v[30:31]
	v_cvt_f16_f32_e32 v8, v1
	v_cvt_f16_f32_e32 v9, v0
	buffer_load_dword v0, off, s[28:31], 0 offset:320 ; 4-byte Folded Reload
	buffer_load_dword v1, off, s[28:31], 0 offset:324 ; 4-byte Folded Reload
	;; [unrolled: 1-line block ×3, first 2 shown]
	v_pack_b32_f16 v8, v9, v8
	s_waitcnt vmcnt(1)
	v_pk_mul_f32 v[0:1], v[0:1], v[30:31]
	v_cvt_f16_f32_e32 v1, v1
	v_cvt_f16_f32_e32 v0, v0
	s_waitcnt vmcnt(0)
	v_pk_add_f16 v7, v26, v7
	v_pk_add_f16 v7, v7, v8
	v_pack_b32_f16 v8, v0, v1
	buffer_load_dword v0, off, s[28:31], 0 offset:64 ; 4-byte Folded Reload
	buffer_load_dword v1, off, s[28:31], 0 offset:68 ; 4-byte Folded Reload
	v_pk_add_f16 v7, v7, v8
	s_waitcnt vmcnt(0)
	v_pk_mul_f32 v[0:1], v[0:1], v[30:31]
	v_cvt_f16_f32_e32 v9, v1
	v_cvt_f16_f32_e32 v26, v0
	buffer_load_dword v0, off, s[28:31], 0 offset:184 ; 4-byte Folded Reload
	buffer_load_dword v1, off, s[28:31], 0 offset:188 ; 4-byte Folded Reload
	v_pack_b32_f16 v8, v26, v9
	buffer_load_dword v9, off, s[28:31], 0  ; 4-byte Folded Reload
	s_waitcnt vmcnt(1)
	v_pk_mul_f32 v[0:1], v[0:1], v[30:31]
	v_cvt_f16_f32_e32 v1, v1
	v_cvt_f16_f32_e32 v0, v0
	s_waitcnt vmcnt(0)
	v_pk_add_f16 v8, v9, v8
	v_pack_b32_f16 v9, v0, v1
	buffer_load_dword v0, off, s[28:31], 0 offset:312 ; 4-byte Folded Reload
	buffer_load_dword v1, off, s[28:31], 0 offset:316 ; 4-byte Folded Reload
	v_pk_add_f16 v8, v8, v9
	s_waitcnt vmcnt(0)
	v_pk_mul_f32 v[0:1], v[0:1], v[30:31]
	v_cvt_f16_f32_e32 v26, v1
	v_cvt_f16_f32_e32 v27, v0
	v_pk_mul_f32 v[0:1], v[28:29], v[30:31]
	v_cvt_f16_f32_e32 v1, v1
	v_cvt_f16_f32_e32 v0, v0
	v_pack_b32_f16 v9, v27, v26
	v_pk_add_f16 v8, v8, v9
	v_pack_b32_f16 v9, v0, v1
	v_pk_mul_f32 v[0:1], v[24:25], v[30:31]
	v_cvt_f16_f32_e32 v24, v1
	v_cvt_f16_f32_e32 v25, v0
	v_pk_mul_f32 v[0:1], v[40:41], v[30:31]
	v_cvt_f16_f32_e32 v1, v1
	v_cvt_f16_f32_e32 v0, v0
	v_pk_add_f16 v26, v3, v9
	v_pack_b32_f16 v3, v25, v24
	v_pk_add_f16 v24, v4, v3
	v_pack_b32_f16 v3, v0, v1
	v_pk_mul_f32 v[0:1], v[20:21], v[30:31]
	v_cvt_f16_f32_e32 v4, v1
	v_cvt_f16_f32_e32 v9, v0
	v_pk_mul_f32 v[0:1], v[56:57], v[30:31]
	v_cvt_f16_f32_e32 v1, v1
	v_cvt_f16_f32_e32 v0, v0
	v_pk_add_f16 v20, v5, v3
	v_pack_b32_f16 v3, v9, v4
	v_pk_add_f16 v9, v6, v3
	v_pack_b32_f16 v3, v0, v1
	v_pk_mul_f32 v[0:1], v[18:19], v[30:31]
	v_cvt_f16_f32_e32 v4, v1
	v_cvt_f16_f32_e32 v5, v0
	buffer_load_dword v0, off, s[28:31], 0 offset:416 ; 4-byte Folded Reload
	buffer_load_dword v1, off, s[28:31], 0 offset:420 ; 4-byte Folded Reload
	;; [unrolled: 1-line block ×4, first 2 shown]
	v_pk_add_f16 v7, v7, v3
	v_pack_b32_f16 v3, v5, v4
	v_pk_add_f16 v6, v8, v3
	s_waitcnt vmcnt(0)
	v_pk_fma_f32 v[0:1], v[10:11], v[18:19], v[0:1] op_sel_hi:[1,0,1]
	v_pk_fma_f32 v[0:1], v[12:13], v[48:49], v[0:1] op_sel_hi:[1,0,1]
	;; [unrolled: 1-line block ×4, first 2 shown]
	v_pk_mul_f32 v[0:1], v[0:1], v[30:31]
	v_cvt_f16_f32_e32 v1, v1
	v_cvt_f16_f32_e32 v0, v0
	v_pack_b32_f16 v0, v0, v1
	v_pk_add_f16 v8, v2, v0
	buffer_load_dword v0, off, s[28:31], 0 offset:304 ; 4-byte Folded Reload
	buffer_load_dword v1, off, s[28:31], 0 offset:308 ; 4-byte Folded Reload
	s_waitcnt vmcnt(1)
	v_add_co_u32_e32 v12, vcc, s0, v0
	s_waitcnt vmcnt(0)
	v_addc_co_u32_e32 v13, vcc, v1, v115, vcc
	s_cbranch_scc1 .LBB42_23
.LBB42_21:                              ; =>This Inner Loop Header: Depth=1
	s_cmp_lg_u32 s24, s5
	buffer_store_dword v6, off, s[28:31], 0 ; 4-byte Folded Spill
	buffer_store_dword v32, off, s[28:31], 0 offset:4 ; 4-byte Folded Spill
	buffer_store_dword v33, off, s[28:31], 0 offset:8 ; 4-byte Folded Spill
	;; [unrolled: 1-line block ×13, first 2 shown]
	s_cbranch_scc0 .LBB42_19
; %bb.22:                               ;   in Loop: Header=BB42_21 Depth=1
	s_waitcnt vmcnt(33)
	buffer_store_dword v22, off, s[28:31], 0 offset:56 ; 4-byte Folded Spill
	s_nop 0
	buffer_store_dword v23, off, s[28:31], 0 offset:60 ; 4-byte Folded Spill
	buffer_load_dword v4, off, s[28:31], 0 offset:440 ; 4-byte Folded Reload
	buffer_load_dword v5, off, s[28:31], 0 offset:444 ; 4-byte Folded Reload
	;; [unrolled: 1-line block ×12, first 2 shown]
	s_waitcnt vmcnt(1)
	v_mov_b32_e32 v6, v8
	buffer_load_dword v8, off, s[28:31], 0 offset:488 ; 4-byte Folded Reload
	buffer_load_dword v9, off, s[28:31], 0 offset:492 ; 4-byte Folded Reload
	;; [unrolled: 1-line block ×4, first 2 shown]
	s_waitcnt vmcnt(0)
	v_mov_b32_e32 v5, v11
	s_branch .LBB42_20
.LBB42_23:
	buffer_load_dword v0, off, s[28:31], 0 offset:508 ; 4-byte Folded Reload
	buffer_load_dword v1, off, s[28:31], 0 offset:512 ; 4-byte Folded Reload
	s_mul_i32 s7, s7, s20
	s_mov_b64 s[0:1], 0
	s_waitcnt vmcnt(1)
	v_add_u32_e32 v0, s7, v0
	s_waitcnt vmcnt(0)
	v_ashrrev_i32_e32 v1, 31, v0
	v_lshlrev_b64 v[2:3], 1, v[0:1]
	v_mov_b32_e32 v1, s19
	v_add_co_u32_e32 v2, vcc, s18, v2
	v_addc_co_u32_e32 v3, vcc, v1, v3, vcc
	global_load_dword v5, v[2:3], off
.LBB42_24:                              ; =>This Inner Loop Header: Depth=1
	s_waitcnt vmcnt(0)
	v_pk_add_f16 v4, v42, v5
	global_atomic_cmpswap v1, v[2:3], v[4:5], off glc
	s_waitcnt vmcnt(0)
	v_cmp_eq_u32_e32 vcc, v5, v1
	s_or_b64 s[0:1], vcc, s[0:1]
	v_mov_b32_e32 v5, v1
	s_andn2_b64 exec, exec, s[0:1]
	s_cbranch_execnz .LBB42_24
; %bb.25:
	s_or_b64 exec, exec, s[0:1]
	global_load_dword v5, v[2:3], off offset:4
	s_mov_b64 s[0:1], 0
.LBB42_26:                              ; =>This Inner Loop Header: Depth=1
	s_waitcnt vmcnt(0)
	v_pk_add_f16 v4, v26, v5
	global_atomic_cmpswap v1, v[2:3], v[4:5], off offset:4 glc
	s_waitcnt vmcnt(0)
	v_cmp_eq_u32_e32 vcc, v5, v1
	s_or_b64 s[0:1], vcc, s[0:1]
	v_mov_b32_e32 v5, v1
	s_andn2_b64 exec, exec, s[0:1]
	s_cbranch_execnz .LBB42_26
; %bb.27:
	s_or_b64 exec, exec, s[0:1]
	v_add_u32_e32 v0, s20, v0
	v_ashrrev_i32_e32 v1, 31, v0
	v_lshlrev_b64 v[2:3], 1, v[0:1]
	v_mov_b32_e32 v1, s19
	v_add_co_u32_e32 v2, vcc, s18, v2
	v_addc_co_u32_e32 v3, vcc, v1, v3, vcc
	global_load_dword v5, v[2:3], off
	s_mov_b64 s[0:1], 0
.LBB42_28:                              ; =>This Inner Loop Header: Depth=1
	s_waitcnt vmcnt(0)
	v_pk_add_f16 v4, v38, v5
	global_atomic_cmpswap v1, v[2:3], v[4:5], off glc
	s_waitcnt vmcnt(0)
	v_cmp_eq_u32_e32 vcc, v5, v1
	s_or_b64 s[0:1], vcc, s[0:1]
	v_mov_b32_e32 v5, v1
	s_andn2_b64 exec, exec, s[0:1]
	s_cbranch_execnz .LBB42_28
; %bb.29:
	s_or_b64 exec, exec, s[0:1]
	global_load_dword v5, v[2:3], off offset:4
	s_mov_b64 s[0:1], 0
.LBB42_30:                              ; =>This Inner Loop Header: Depth=1
	s_waitcnt vmcnt(0)
	v_pk_add_f16 v4, v24, v5
	global_atomic_cmpswap v1, v[2:3], v[4:5], off offset:4 glc
	s_waitcnt vmcnt(0)
	v_cmp_eq_u32_e32 vcc, v5, v1
	s_or_b64 s[0:1], vcc, s[0:1]
	v_mov_b32_e32 v5, v1
	s_andn2_b64 exec, exec, s[0:1]
	s_cbranch_execnz .LBB42_30
; %bb.31:
	s_or_b64 exec, exec, s[0:1]
	v_add_u32_e32 v0, s20, v0
	v_ashrrev_i32_e32 v1, 31, v0
	v_lshlrev_b64 v[2:3], 1, v[0:1]
	v_mov_b32_e32 v1, s19
	v_add_co_u32_e32 v2, vcc, s18, v2
	v_addc_co_u32_e32 v3, vcc, v1, v3, vcc
	global_load_dword v5, v[2:3], off
	s_mov_b64 s[0:1], 0
	;; [unrolled: 34-line block ×6, first 2 shown]
.LBB42_48:                              ; =>This Inner Loop Header: Depth=1
	s_waitcnt vmcnt(0)
	v_pk_add_f16 v2, v32, v3
	global_atomic_cmpswap v2, v[0:1], v[2:3], off glc
	s_waitcnt vmcnt(0)
	v_cmp_eq_u32_e32 vcc, v3, v2
	s_or_b64 s[0:1], vcc, s[0:1]
	v_mov_b32_e32 v3, v2
	s_andn2_b64 exec, exec, s[0:1]
	s_cbranch_execnz .LBB42_48
; %bb.49:
	s_or_b64 exec, exec, s[0:1]
	global_load_dword v3, v[0:1], off offset:4
	s_mov_b64 s[0:1], 0
.LBB42_50:                              ; =>This Inner Loop Header: Depth=1
	s_waitcnt vmcnt(0)
	v_pk_add_f16 v2, v8, v3
	global_atomic_cmpswap v2, v[0:1], v[2:3], off offset:4 glc
	s_waitcnt vmcnt(0)
	v_cmp_eq_u32_e32 vcc, v3, v2
	s_or_b64 s[0:1], vcc, s[0:1]
	v_mov_b32_e32 v3, v2
	s_andn2_b64 exec, exec, s[0:1]
	s_cbranch_execnz .LBB42_50
.LBB42_51:
	s_endpgm
	.section	.rodata,"a",@progbits
	.p2align	6, 0x0
	.amdhsa_kernel _ZN4vllm4gptq33gemm_half_q_half_gptq_8bit_kernelILb1ELi7EEEvPK6__halfPKjS6_S4_PS2_iiiibPKi
		.amdhsa_group_segment_fixed_size 1792
		.amdhsa_private_segment_fixed_size 524
		.amdhsa_kernarg_size 72
		.amdhsa_user_sgpr_count 6
		.amdhsa_user_sgpr_private_segment_buffer 1
		.amdhsa_user_sgpr_dispatch_ptr 0
		.amdhsa_user_sgpr_queue_ptr 0
		.amdhsa_user_sgpr_kernarg_segment_ptr 1
		.amdhsa_user_sgpr_dispatch_id 0
		.amdhsa_user_sgpr_flat_scratch_init 0
		.amdhsa_user_sgpr_kernarg_preload_length 0
		.amdhsa_user_sgpr_kernarg_preload_offset 0
		.amdhsa_user_sgpr_private_segment_size 0
		.amdhsa_uses_dynamic_stack 0
		.amdhsa_system_sgpr_private_segment_wavefront_offset 1
		.amdhsa_system_sgpr_workgroup_id_x 1
		.amdhsa_system_sgpr_workgroup_id_y 1
		.amdhsa_system_sgpr_workgroup_id_z 1
		.amdhsa_system_sgpr_workgroup_info 0
		.amdhsa_system_vgpr_workitem_id 0
		.amdhsa_next_free_vgpr 128
		.amdhsa_next_free_sgpr 32
		.amdhsa_accum_offset 128
		.amdhsa_reserve_vcc 1
		.amdhsa_reserve_flat_scratch 0
		.amdhsa_float_round_mode_32 0
		.amdhsa_float_round_mode_16_64 0
		.amdhsa_float_denorm_mode_32 3
		.amdhsa_float_denorm_mode_16_64 3
		.amdhsa_dx10_clamp 1
		.amdhsa_ieee_mode 1
		.amdhsa_fp16_overflow 0
		.amdhsa_tg_split 0
		.amdhsa_exception_fp_ieee_invalid_op 0
		.amdhsa_exception_fp_denorm_src 0
		.amdhsa_exception_fp_ieee_div_zero 0
		.amdhsa_exception_fp_ieee_overflow 0
		.amdhsa_exception_fp_ieee_underflow 0
		.amdhsa_exception_fp_ieee_inexact 0
		.amdhsa_exception_int_div_zero 0
	.end_amdhsa_kernel
	.section	.text._ZN4vllm4gptq33gemm_half_q_half_gptq_8bit_kernelILb1ELi7EEEvPK6__halfPKjS6_S4_PS2_iiiibPKi,"axG",@progbits,_ZN4vllm4gptq33gemm_half_q_half_gptq_8bit_kernelILb1ELi7EEEvPK6__halfPKjS6_S4_PS2_iiiibPKi,comdat
.Lfunc_end42:
	.size	_ZN4vllm4gptq33gemm_half_q_half_gptq_8bit_kernelILb1ELi7EEEvPK6__halfPKjS6_S4_PS2_iiiibPKi, .Lfunc_end42-_ZN4vllm4gptq33gemm_half_q_half_gptq_8bit_kernelILb1ELi7EEEvPK6__halfPKjS6_S4_PS2_iiiibPKi
                                        ; -- End function
	.section	.AMDGPU.csdata,"",@progbits
; Kernel info:
; codeLenInByte = 16392
; NumSgprs: 36
; NumVgprs: 128
; NumAgprs: 0
; TotalNumVgprs: 128
; ScratchSize: 524
; MemoryBound: 0
; FloatMode: 240
; IeeeMode: 1
; LDSByteSize: 1792 bytes/workgroup (compile time only)
; SGPRBlocks: 4
; VGPRBlocks: 15
; NumSGPRsForWavesPerEU: 36
; NumVGPRsForWavesPerEU: 128
; AccumOffset: 128
; Occupancy: 4
; WaveLimiterHint : 0
; COMPUTE_PGM_RSRC2:SCRATCH_EN: 1
; COMPUTE_PGM_RSRC2:USER_SGPR: 6
; COMPUTE_PGM_RSRC2:TRAP_HANDLER: 0
; COMPUTE_PGM_RSRC2:TGID_X_EN: 1
; COMPUTE_PGM_RSRC2:TGID_Y_EN: 1
; COMPUTE_PGM_RSRC2:TGID_Z_EN: 1
; COMPUTE_PGM_RSRC2:TIDIG_COMP_CNT: 0
; COMPUTE_PGM_RSRC3_GFX90A:ACCUM_OFFSET: 31
; COMPUTE_PGM_RSRC3_GFX90A:TG_SPLIT: 0
	.section	.text._ZN4vllm4gptq33gemm_half_q_half_gptq_2bit_kernelILb1ELi8EEEvPK6__halfPKjS6_S4_PS2_iiiibPKi,"axG",@progbits,_ZN4vllm4gptq33gemm_half_q_half_gptq_2bit_kernelILb1ELi8EEEvPK6__halfPKjS6_S4_PS2_iiiibPKi,comdat
	.protected	_ZN4vllm4gptq33gemm_half_q_half_gptq_2bit_kernelILb1ELi8EEEvPK6__halfPKjS6_S4_PS2_iiiibPKi ; -- Begin function _ZN4vllm4gptq33gemm_half_q_half_gptq_2bit_kernelILb1ELi8EEEvPK6__halfPKjS6_S4_PS2_iiiibPKi
	.globl	_ZN4vllm4gptq33gemm_half_q_half_gptq_2bit_kernelILb1ELi8EEEvPK6__halfPKjS6_S4_PS2_iiiibPKi
	.p2align	8
	.type	_ZN4vllm4gptq33gemm_half_q_half_gptq_2bit_kernelILb1ELi8EEEvPK6__halfPKjS6_S4_PS2_iiiibPKi,@function
_ZN4vllm4gptq33gemm_half_q_half_gptq_2bit_kernelILb1ELi8EEEvPK6__halfPKjS6_S4_PS2_iiiibPKi: ; @_ZN4vllm4gptq33gemm_half_q_half_gptq_2bit_kernelILb1ELi8EEEvPK6__halfPKjS6_S4_PS2_iiiibPKi
; %bb.0:
	s_load_dwordx8 s[12:19], s[4:5], 0x8
	s_load_dwordx4 s[20:23], s[4:5], 0x2c
	s_lshl_b32 s24, s8, 7
	s_add_i32 s0, s24, 0x80
	v_cvt_f64_u32_e32 v[2:3], s0
	s_lshl_b32 s7, s7, 3
	s_waitcnt lgkmcnt(0)
	v_cvt_f64_i32_e32 v[4:5], s21
	v_min_f64 v[2:3], v[2:3], v[4:5]
	v_cvt_i32_f64_e32 v1, v[2:3]
	v_add_u32_e32 v2, s24, v0
	v_readfirstlane_b32 s25, v1
	v_cmp_lt_u32_e32 vcc, v2, v1
	s_and_saveexec_b64 s[2:3], vcc
	s_cbranch_execz .LBB43_18
; %bb.1:
	s_load_dwordx2 s[0:1], s[4:5], 0x40
	s_load_dwordx2 s[8:9], s[4:5], 0x0
	v_mov_b32_e32 v3, 0
	v_lshlrev_b64 v[4:5], 2, v[2:3]
	v_pk_mov_b32 v[6:7], v[2:3], v[2:3] op_sel:[0,1]
	s_waitcnt lgkmcnt(0)
	s_cmp_lg_u64 s[0:1], 0
	v_mov_b32_e32 v1, s1
	v_add_co_u32_e32 v4, vcc, s0, v4
	s_cselect_b64 s[4:5], -1, 0
	s_cmp_eq_u64 s[0:1], 0
	v_addc_co_u32_e32 v5, vcc, v1, v5, vcc
	s_cbranch_scc1 .LBB43_3
; %bb.2:
	global_load_dword v6, v[4:5], off
	s_waitcnt vmcnt(0)
	v_ashrrev_i32_e32 v7, 31, v6
.LBB43_3:
	s_mul_i32 s10, s7, s21
	s_ashr_i32 s11, s10, 31
	s_lshl_b64 s[0:1], s[10:11], 1
	s_add_u32 s0, s8, s0
	s_addc_u32 s1, s9, s1
	v_lshlrev_b64 v[6:7], 1, v[6:7]
	v_mov_b32_e32 v1, s1
	v_add_co_u32_e32 v6, vcc, s0, v6
	v_addc_co_u32_e32 v7, vcc, v1, v7, vcc
	global_load_ushort v6, v[6:7], off
	v_lshlrev_b32_e32 v1, 1, v0
	v_cndmask_b32_e64 v7, 0, 1, s[4:5]
	v_cmp_ne_u32_e64 s[0:1], 1, v7
	s_andn2_b64 vcc, exec, s[4:5]
	s_waitcnt vmcnt(0)
	ds_write_b16 v1, v6
	v_pk_mov_b32 v[6:7], v[2:3], v[2:3] op_sel:[0,1]
	s_cbranch_vccnz .LBB43_5
; %bb.4:
	global_load_dword v6, v[4:5], off
	s_waitcnt vmcnt(0)
	v_ashrrev_i32_e32 v7, 31, v6
.LBB43_5:
	s_add_i32 s4, s10, s21
	s_ashr_i32 s5, s4, 31
	s_lshl_b64 s[10:11], s[4:5], 1
	s_add_u32 s5, s8, s10
	s_addc_u32 s10, s9, s11
	v_lshlrev_b64 v[6:7], 1, v[6:7]
	v_mov_b32_e32 v8, s10
	v_add_co_u32_e32 v6, vcc, s5, v6
	v_addc_co_u32_e32 v7, vcc, v8, v7, vcc
	global_load_ushort v6, v[6:7], off
	s_and_b64 vcc, exec, s[0:1]
	s_waitcnt vmcnt(0)
	ds_write_b16 v1, v6 offset:256
	v_pk_mov_b32 v[6:7], v[2:3], v[2:3] op_sel:[0,1]
	s_cbranch_vccnz .LBB43_7
; %bb.6:
	global_load_dword v6, v[4:5], off
	s_waitcnt vmcnt(0)
	v_ashrrev_i32_e32 v7, 31, v6
.LBB43_7:
	s_add_i32 s4, s4, s21
	s_ashr_i32 s5, s4, 31
	s_lshl_b64 s[10:11], s[4:5], 1
	s_add_u32 s5, s8, s10
	s_addc_u32 s10, s9, s11
	v_lshlrev_b64 v[6:7], 1, v[6:7]
	v_mov_b32_e32 v8, s10
	v_add_co_u32_e32 v6, vcc, s5, v6
	v_addc_co_u32_e32 v7, vcc, v8, v7, vcc
	global_load_ushort v6, v[6:7], off
	s_and_b64 vcc, exec, s[0:1]
	s_waitcnt vmcnt(0)
	ds_write_b16 v1, v6 offset:512
	;; [unrolled: 20-line block ×6, first 2 shown]
	s_cbranch_vccnz .LBB43_17
; %bb.16:
	global_load_dword v2, v[4:5], off
	s_waitcnt vmcnt(0)
	v_ashrrev_i32_e32 v3, 31, v2
.LBB43_17:
	s_add_i32 s0, s4, s21
	s_ashr_i32 s1, s0, 31
	s_lshl_b64 s[0:1], s[0:1], 1
	s_add_u32 s0, s8, s0
	s_addc_u32 s1, s9, s1
	v_lshlrev_b64 v[2:3], 1, v[2:3]
	v_mov_b32_e32 v4, s1
	v_add_co_u32_e32 v2, vcc, s0, v2
	v_addc_co_u32_e32 v3, vcc, v4, v3, vcc
	global_load_ushort v2, v[2:3], off
	s_waitcnt vmcnt(0)
	ds_write_b16 v1, v2 offset:1792
.LBB43_18:
	s_or_b64 exec, exec, s[2:3]
	v_lshlrev_b32_e32 v1, 2, v0
	v_lshl_add_u32 v4, s6, 9, v1
	v_cmp_gt_i32_e32 vcc, s20, v4
	s_and_saveexec_b64 s[0:1], vcc
	s_cbranch_execz .LBB43_56
; %bb.19:
	s_abs_i32 s0, s22
	v_cvt_f32_u32_e32 v1, s0
	s_mov_b32 s2, 0
	v_mov_b32_e32 v30, 0
	v_mov_b32_e32 v29, 0
	v_rcp_iflag_f32_e32 v1, v1
	v_mov_b32_e32 v27, 0
	v_mov_b32_e32 v26, 0
	s_cmp_ge_i32 s24, s25
	v_mul_f32_e32 v1, 0x4f7ffffe, v1
	v_cvt_u32_f32_e32 v1, v1
	v_mov_b32_e32 v25, 0
	v_mov_b32_e32 v24, 0
	v_mov_b32_e32 v23, 0
	v_readfirstlane_b32 s1, v1
	v_mov_b32_e32 v22, 0
	v_mov_b32_e32 v21, 0
	;; [unrolled: 1-line block ×9, first 2 shown]
	s_waitcnt lgkmcnt(0)
	s_barrier
	s_cbranch_scc1 .LBB43_24
; %bb.20:
	s_sub_i32 s6, 0, s0
	s_mul_i32 s6, s6, s1
	s_mul_hi_u32 s6, s1, s6
	s_abs_i32 s5, s21
	s_add_i32 s1, s1, s6
	s_ashr_i32 s3, s21, 31
	s_ashr_i32 s4, s22, 31
	s_mul_hi_u32 s1, s5, s1
	s_xor_b32 s3, s3, s4
	s_mul_i32 s4, s1, s0
	s_sub_i32 s4, s5, s4
	s_add_i32 s5, s1, 1
	s_sub_i32 s6, s4, s0
	s_cmp_ge_u32 s4, s0
	s_cselect_b32 s1, s5, s1
	s_cselect_b32 s4, s6, s4
	s_add_i32 s5, s1, 1
	s_cmp_ge_u32 s4, s0
	s_cselect_b32 s0, s5, s1
	s_xor_b32 s0, s0, s3
	s_sub_i32 s3, s0, s3
	v_cvt_f32_u32_e32 v1, s3
	s_bitcmp1_b32 s23, 0
	s_cselect_b64 s[0:1], -1, 0
	s_sub_i32 s4, 0, s3
	v_rcp_iflag_f32_e32 v1, v1
	s_xor_b64 s[0:1], s[0:1], -1
	v_ashrrev_i32_e32 v5, 31, v4
	v_lshrrev_b32_e32 v2, 28, v5
	v_mul_f32_e32 v1, 0x4f7ffffe, v1
	v_cvt_u32_f32_e32 v1, v1
	v_add_u32_e32 v2, v4, v2
	v_ashrrev_i32_e32 v28, 4, v2
	v_mov_b32_e32 v14, 0
	v_readfirstlane_b32 s5, v1
	s_mul_i32 s4, s4, s5
	s_mul_hi_u32 s4, s5, s4
	s_add_i32 s5, s5, s4
	s_mul_hi_u32 s4, s24, s5
	s_mul_i32 s5, s4, s3
	s_sub_i32 s5, s24, s5
	s_add_i32 s6, s4, 1
	s_sub_i32 s8, s5, s3
	s_cmp_ge_u32 s5, s3
	s_cselect_b32 s4, s6, s4
	s_cselect_b32 s5, s8, s5
	s_add_i32 s6, s4, 1
	s_cmp_ge_u32 s5, s3
	s_cselect_b32 s4, s6, s4
	s_mul_i32 s5, s4, s20
	s_ashr_i32 s6, s5, 31
	s_lshr_b32 s6, s6, 28
	v_add_u32_e32 v2, s5, v4
	s_add_i32 s5, s5, s6
	s_ashr_i32 s5, s5, 4
	v_add_u32_e32 v6, s5, v28
	v_ashrrev_i32_e32 v7, 31, v6
	v_lshlrev_b64 v[6:7], 2, v[6:7]
	v_ashrrev_i32_e32 v3, 31, v2
	v_mov_b32_e32 v1, s15
	v_add_co_u32_e32 v6, vcc, s14, v6
	v_lshlrev_b64 v[2:3], 1, v[2:3]
	v_addc_co_u32_e32 v7, vcc, v1, v7, vcc
	global_load_dword v10, v[6:7], off
	v_mov_b32_e32 v1, s17
	v_add_co_u32_e32 v2, vcc, s16, v2
	v_addc_co_u32_e32 v3, vcc, v1, v3, vcc
	global_load_dwordx2 v[6:7], v[2:3], off
	v_lshlrev_b32_e32 v2, 3, v0
	v_lshlrev_b64 v[0:1], 2, v[4:5]
	v_cndmask_b32_e64 v5, 0, 1, s[0:1]
	s_lshr_b32 s0, s24, 4
	s_mul_i32 s0, s0, s20
	s_ashr_i32 s1, s0, 31
	s_add_i32 s10, s3, s24
	s_ashr_i32 s21, s20, 31
	s_lshl_b64 s[0:1], s[0:1], 2
	s_add_u32 s11, s12, s0
	s_addc_u32 s12, s13, s1
	v_mov_b32_e32 v3, s12
	v_add_co_u32_e32 v0, vcc, s11, v0
	v_addc_co_u32_e32 v1, vcc, v3, v1, vcc
	v_and_b32_e32 v31, 24, v2
	v_add_co_u32_e32 v8, vcc, 8, v0
	s_movk_i32 s5, 0x3400
	s_movk_i32 s6, 0x2c00
	;; [unrolled: 1-line block ×3, first 2 shown]
	s_mov_b32 s9, 0x7060302
	v_mov_b32_e32 v15, 0
	v_mov_b32_e32 v16, 0
	;; [unrolled: 1-line block ×14, first 2 shown]
	s_lshl_b64 s[0:1], s[20:21], 2
	v_addc_co_u32_e32 v9, vcc, 0, v1, vcc
	v_mov_b32_e32 v30, 0
	s_waitcnt vmcnt(1)
	v_lshrrev_b32_e32 v0, v2, v10
	v_bfe_u32 v32, v10, v31, 2
	v_bfe_u32 v33, v0, 2, 2
	;; [unrolled: 1-line block ×4, first 2 shown]
	s_branch .LBB43_22
.LBB43_21:                              ;   in Loop: Header=BB43_22 Depth=1
	global_load_dwordx4 v[0:3], v[8:9], off offset:-8
	v_add_u32_e32 v10, v32, v5
	v_add_u32_e32 v13, v35, v5
	v_or_b32_e32 v40, 0xffffe400, v10
	v_cvt_f32_i32_e32 v10, v10
	v_or_b32_e32 v64, 0xffffe400, v13
	v_cvt_f32_i32_e32 v13, v13
	v_add_u32_e32 v11, v33, v5
	v_add_u32_e32 v12, v34, v5
	v_or_b32_e32 v41, 0xffffe400, v11
	v_cvt_f32_i32_e32 v11, v11
	v_or_b32_e32 v54, 0xffffe400, v12
	v_cvt_f32_i32_e32 v12, v12
	v_cvt_f16_f32_e32 v10, v10
	v_cvt_f16_f32_e32 v13, v13
	;; [unrolled: 1-line block ×4, first 2 shown]
	v_sub_f16_e32 v42, 0xdc00, v10
	v_sub_f16_e32 v43, 0xd400, v10
	;; [unrolled: 1-line block ×12, first 2 shown]
	s_add_i32 s11, s2, 0x400
	s_add_i32 s24, s24, 16
	v_add_co_u32_e32 v8, vcc, s0, v8
	s_waitcnt vmcnt(0)
	v_and_b32_e32 v13, 0x30003, v0
	v_and_b32_e32 v36, 0xc000c, v0
	;; [unrolled: 1-line block ×4, first 2 shown]
	v_lshrrev_b32_e32 v0, 8, v0
	v_and_b32_e32 v39, 0x30003, v1
	v_and_b32_e32 v44, 0xc000c, v1
	;; [unrolled: 1-line block ×4, first 2 shown]
	v_lshrrev_b32_e32 v1, 8, v1
	v_and_b32_e32 v48, 0xc000c, v2
	v_and_b32_e32 v53, 0x30003, v0
	;; [unrolled: 1-line block ×11, first 2 shown]
	v_or_b32_e32 v13, 0x64006400, v13
	v_or_b32_e32 v37, 0x64006400, v37
	v_or_b32_e32 v38, 0x64006400, v38
	v_or_b32_e32 v69, 0x64006400, v48
	v_or_b32_e32 v48, 0x64006400, v53
	v_or_b32_e32 v53, 0x64006400, v57
	v_or_b32_e32 v57, 0x64006400, v58
	v_or_b32_e32 v0, 0x64006400, v0
	v_or_b32_e32 v1, 0x64006400, v1
	v_or_b32_e32 v36, 0x64006400, v36
	v_or_b32_e32 v39, 0x64006400, v39
	v_or_b32_e32 v59, 0x64006400, v44
	v_or_b32_e32 v61, 0x64006400, v46
	v_or_b32_e32 v68, 0x64006400, v47
	v_pk_add_f16 v44, v40, v13 op_sel_hi:[0,1]
	v_pk_fma_f16 v46, v37, s6, v43 op_sel_hi:[1,0,0]
	v_pk_fma_f16 v47, v38, s8, v49 op_sel_hi:[1,0,0]
	v_or_b32_e32 v13, 0x64006400, v62
	v_or_b32_e32 v62, 0x64006400, v63
	v_pk_add_f16 v58, v40, v48 op_sel_hi:[0,1]
	v_pk_fma_f16 v48, v57, s6, v43 op_sel_hi:[1,0,0]
	v_pk_fma_f16 v49, v0, s8, v49 op_sel_hi:[1,0,0]
	;; [unrolled: 1-line block ×3, first 2 shown]
	v_or_b32_e32 v0, 0x64006400, v52
	v_and_b32_e32 v1, 0xc000c0, v2
	v_lshrrev_b32_e32 v2, 8, v2
	v_or_b32_e32 v60, 0x64006400, v45
	v_pk_fma_f16 v45, v36, s5, v42 op_sel_hi:[1,0,0]
	v_pk_add_f16 v36, v41, v39 op_sel_hi:[0,1]
	v_pk_fma_f16 v37, v59, s5, v50 op_sel_hi:[1,0,0]
	v_pk_fma_f16 v39, v61, s8, v11 op_sel_hi:[1,0,0]
	v_pk_add_f16 v40, v41, v13 op_sel_hi:[0,1]
	v_pk_fma_f16 v41, v62, s5, v50 op_sel_hi:[1,0,0]
	v_or_b32_e32 v1, 0x64006400, v1
	v_and_b32_e32 v11, 0x30003, v2
	v_and_b32_e32 v13, 0xc000c, v2
	;; [unrolled: 1-line block ×4, first 2 shown]
	v_pk_fma_f16 v52, v0, s6, v56 op_sel_hi:[1,0,0]
	v_and_b32_e32 v0, 0x30003, v3
	v_pk_fma_f16 v59, v53, s5, v42 op_sel_hi:[1,0,0]
	v_or_b32_e32 v57, 0x64006400, v50
	v_or_b32_e32 v2, 0x64006400, v2
	v_pk_fma_f16 v53, v1, s8, v12 op_sel_hi:[1,0,0]
	v_or_b32_e32 v1, 0x64006400, v0
	v_and_b32_e32 v0, 0xc000c, v3
	v_or_b32_e32 v11, 0x64006400, v11
	v_pk_fma_f16 v56, v57, s6, v56 op_sel_hi:[1,0,0]
	v_pk_fma_f16 v57, v2, s8, v12 op_sel_hi:[1,0,0]
	v_or_b32_e32 v2, 0x64006400, v0
	v_and_b32_e32 v0, 0x300030, v3
	v_pk_add_f16 v50, v54, v68 op_sel_hi:[0,1]
	v_pk_add_f16 v54, v54, v11 op_sel_hi:[0,1]
	v_or_b32_e32 v11, 0x64006400, v0
	v_and_b32_e32 v0, 0xc000c0, v3
	v_or_b32_e32 v63, 0x64006400, v67
	v_or_b32_e32 v13, 0x64006400, v13
	;; [unrolled: 1-line block ×3, first 2 shown]
	v_lshrrev_b32_e32 v0, 8, v3
	v_pk_fma_f16 v38, v60, s6, v51 op_sel_hi:[1,0,0]
	v_pk_fma_f16 v42, v63, s6, v51 op_sel_hi:[1,0,0]
	;; [unrolled: 1-line block ×4, first 2 shown]
	v_and_b32_e32 v13, 0xc000c, v0
	v_or_b32_e32 v13, 0x64006400, v13
	v_mov_b32_e32 v68, s2
	v_pk_fma_f16 v61, v2, s5, v65 op_sel_hi:[1,0,0]
	v_pk_fma_f16 v63, v12, s8, v10 op_sel_hi:[1,0,0]
	;; [unrolled: 1-line block ×3, first 2 shown]
	ds_read2_b32 v[12:13], v68 offset1:1
	v_and_b32_e32 v3, 0x30003, v0
	v_and_b32_e32 v60, 0x300030, v0
	;; [unrolled: 1-line block ×3, first 2 shown]
	v_or_b32_e32 v3, 0x64006400, v3
	v_or_b32_e32 v67, 0x64006400, v60
	;; [unrolled: 1-line block ×3, first 2 shown]
	v_pk_add_f16 v60, v64, v1 op_sel_hi:[0,1]
	v_pk_fma_f16 v62, v11, s6, v66 op_sel_hi:[1,0,0]
	v_pk_add_f16 v64, v64, v3 op_sel_hi:[0,1]
	v_pk_fma_f16 v66, v67, s6, v66 op_sel_hi:[1,0,0]
	v_pk_fma_f16 v67, v0, s8, v10 op_sel_hi:[1,0,0]
	ds_read2_b32 v[10:11], v68 offset0:2 offset1:3
	ds_read2_b32 v[2:3], v68 offset0:4 offset1:5
	ds_read2_b32 v[0:1], v68 offset0:6 offset1:7
	s_waitcnt lgkmcnt(3)
	v_pk_fma_f16 v69, v44, v12, 0
	v_pk_fma_f16 v70, v36, v12, 0
	v_pk_fma_f16 v69, v45, v13, v69
	v_pk_fma_f16 v70, v37, v13, v70
	s_waitcnt lgkmcnt(2)
	v_pk_fma_f16 v69, v46, v10, v69
	v_pk_fma_f16 v70, v38, v10, v70
	v_pk_fma_f16 v69, v47, v11, v69
	v_pk_fma_f16 v70, v39, v11, v70
	s_waitcnt lgkmcnt(1)
	v_pk_fma_f16 v69, v58, v2, v69
	v_pk_fma_f16 v70, v40, v2, v70
	v_pk_fma_f16 v69, v59, v3, v69
	v_pk_fma_f16 v70, v41, v3, v70
	s_waitcnt lgkmcnt(0)
	v_pk_fma_f16 v69, v48, v0, v69
	v_pk_fma_f16 v70, v42, v0, v70
	v_pk_fma_f16 v69, v49, v1, v69
	v_pk_fma_f16 v70, v43, v1, v70
	v_pack_b32_f16 v71, v69, v70
	v_perm_b32 v69, v70, v69, s9
	v_pk_add_f16 v69, v71, v69
	v_pk_fma_f16 v30, v69, v6, v30
	v_pk_fma_f16 v69, v50, v12, 0
	v_pk_fma_f16 v12, v60, v12, 0
	v_pk_fma_f16 v69, v51, v13, v69
	v_pk_fma_f16 v12, v61, v13, v12
	v_pk_fma_f16 v69, v52, v10, v69
	v_pk_fma_f16 v10, v62, v10, v12
	v_pk_fma_f16 v69, v53, v11, v69
	v_pk_fma_f16 v10, v63, v11, v10
	v_pk_fma_f16 v69, v54, v2, v69
	v_pk_fma_f16 v2, v64, v2, v10
	v_pk_fma_f16 v69, v55, v3, v69
	v_pk_fma_f16 v2, v65, v3, v2
	v_pk_fma_f16 v69, v56, v0, v69
	v_pk_fma_f16 v0, v66, v0, v2
	v_pk_fma_f16 v69, v57, v1, v69
	v_pk_fma_f16 v0, v67, v1, v0
	v_pack_b32_f16 v1, v69, v0
	v_perm_b32 v0, v0, v69, s9
	v_pk_add_f16 v2, v1, v0
	ds_read2_b32 v[0:1], v68 offset0:64 offset1:65
	v_pk_fma_f16 v29, v2, v7, v29
	ds_read2_b32 v[2:3], v68 offset0:66 offset1:67
	ds_read2_b32 v[10:11], v68 offset0:68 offset1:69
	ds_read2_b32 v[12:13], v68 offset0:70 offset1:71
	s_waitcnt lgkmcnt(3)
	v_pk_fma_f16 v69, v44, v0, 0
	v_pk_fma_f16 v70, v36, v0, 0
	v_pk_fma_f16 v69, v45, v1, v69
	v_pk_fma_f16 v70, v37, v1, v70
	s_waitcnt lgkmcnt(2)
	v_pk_fma_f16 v69, v46, v2, v69
	v_pk_fma_f16 v70, v38, v2, v70
	v_pk_fma_f16 v69, v47, v3, v69
	v_pk_fma_f16 v70, v39, v3, v70
	s_waitcnt lgkmcnt(1)
	v_pk_fma_f16 v69, v58, v10, v69
	v_pk_fma_f16 v70, v40, v10, v70
	v_pk_fma_f16 v69, v59, v11, v69
	v_pk_fma_f16 v70, v41, v11, v70
	s_waitcnt lgkmcnt(0)
	v_pk_fma_f16 v69, v48, v12, v69
	v_pk_fma_f16 v70, v42, v12, v70
	v_pk_fma_f16 v69, v49, v13, v69
	v_pk_fma_f16 v70, v43, v13, v70
	v_pack_b32_f16 v71, v69, v70
	v_perm_b32 v69, v70, v69, s9
	v_pk_add_f16 v69, v71, v69
	v_pk_fma_f16 v27, v69, v6, v27
	v_pk_fma_f16 v69, v50, v0, 0
	v_pk_fma_f16 v0, v60, v0, 0
	v_pk_fma_f16 v69, v51, v1, v69
	v_pk_fma_f16 v0, v61, v1, v0
	v_pk_fma_f16 v69, v52, v2, v69
	v_pk_fma_f16 v0, v62, v2, v0
	v_pk_fma_f16 v69, v53, v3, v69
	v_pk_fma_f16 v0, v63, v3, v0
	v_pk_fma_f16 v69, v54, v10, v69
	v_pk_fma_f16 v0, v64, v10, v0
	v_pk_fma_f16 v69, v55, v11, v69
	v_pk_fma_f16 v0, v65, v11, v0
	v_pk_fma_f16 v69, v56, v12, v69
	v_pk_fma_f16 v0, v66, v12, v0
	v_pk_fma_f16 v69, v57, v13, v69
	v_pk_fma_f16 v0, v67, v13, v0
	v_pack_b32_f16 v1, v69, v0
	v_perm_b32 v0, v0, v69, s9
	v_pk_add_f16 v2, v1, v0
	ds_read2_b32 v[0:1], v68 offset0:128 offset1:129
	v_pk_fma_f16 v26, v2, v7, v26
	;; [unrolled: 48-line block ×3, first 2 shown]
	ds_read2_b32 v[2:3], v68 offset0:194 offset1:195
	ds_read2_b32 v[10:11], v68 offset0:196 offset1:197
	;; [unrolled: 1-line block ×3, first 2 shown]
	s_waitcnt lgkmcnt(3)
	v_pk_fma_f16 v68, v44, v0, 0
	v_pk_fma_f16 v69, v36, v0, 0
	v_pk_fma_f16 v68, v45, v1, v68
	v_pk_fma_f16 v69, v37, v1, v69
	s_waitcnt lgkmcnt(2)
	v_pk_fma_f16 v68, v46, v2, v68
	v_pk_fma_f16 v69, v38, v2, v69
	v_pk_fma_f16 v68, v47, v3, v68
	v_pk_fma_f16 v69, v39, v3, v69
	s_waitcnt lgkmcnt(1)
	v_pk_fma_f16 v68, v58, v10, v68
	v_pk_fma_f16 v69, v40, v10, v69
	v_pk_fma_f16 v68, v59, v11, v68
	v_pk_fma_f16 v69, v41, v11, v69
	s_waitcnt lgkmcnt(0)
	v_pk_fma_f16 v68, v48, v12, v68
	v_pk_fma_f16 v69, v42, v12, v69
	v_pk_fma_f16 v68, v49, v13, v68
	v_pk_fma_f16 v69, v43, v13, v69
	v_pack_b32_f16 v70, v68, v69
	v_perm_b32 v68, v69, v68, s9
	v_pk_add_f16 v68, v70, v68
	v_pk_fma_f16 v23, v68, v6, v23
	v_pk_fma_f16 v68, v50, v0, 0
	;; [unrolled: 1-line block ×17, first 2 shown]
	v_pack_b32_f16 v1, v68, v0
	v_perm_b32 v0, v0, v68, s9
	v_pk_add_f16 v0, v1, v0
	v_pk_fma_f16 v22, v0, v7, v22
	v_mov_b32_e32 v0, s11
	s_add_i32 s11, s2, 0x408
	ds_read2_b32 v[10:11], v0 offset1:1
	v_mov_b32_e32 v1, s11
	s_add_i32 s11, s2, 0x410
	v_mov_b32_e32 v2, s11
	s_add_i32 s11, s2, 0x418
	v_mov_b32_e32 v0, s11
	ds_read2_b32 v[12:13], v1 offset1:1
	ds_read2_b32 v[2:3], v2 offset1:1
	ds_read2_b32 v[0:1], v0 offset1:1
	s_waitcnt lgkmcnt(3)
	v_pk_fma_f16 v68, v44, v10, 0
	v_pk_fma_f16 v69, v36, v10, 0
	v_pk_fma_f16 v68, v45, v11, v68
	v_pk_fma_f16 v69, v37, v11, v69
	s_waitcnt lgkmcnt(2)
	v_pk_fma_f16 v68, v46, v12, v68
	v_pk_fma_f16 v69, v38, v12, v69
	v_pk_fma_f16 v68, v47, v13, v68
	v_pk_fma_f16 v69, v39, v13, v69
	s_waitcnt lgkmcnt(1)
	v_pk_fma_f16 v68, v58, v2, v68
	v_pk_fma_f16 v69, v40, v2, v69
	v_pk_fma_f16 v68, v59, v3, v68
	v_pk_fma_f16 v69, v41, v3, v69
	s_waitcnt lgkmcnt(0)
	v_pk_fma_f16 v68, v48, v0, v68
	v_pk_fma_f16 v69, v42, v0, v69
	v_pk_fma_f16 v68, v49, v1, v68
	v_pk_fma_f16 v69, v43, v1, v69
	v_pack_b32_f16 v70, v68, v69
	v_perm_b32 v68, v69, v68, s9
	v_pk_add_f16 v68, v70, v68
	v_pk_fma_f16 v21, v68, v6, v21
	v_pk_fma_f16 v68, v50, v10, 0
	v_pk_fma_f16 v10, v60, v10, 0
	v_pk_fma_f16 v68, v51, v11, v68
	v_pk_fma_f16 v10, v61, v11, v10
	v_pk_fma_f16 v68, v52, v12, v68
	v_pk_fma_f16 v10, v62, v12, v10
	v_pk_fma_f16 v68, v53, v13, v68
	v_pk_fma_f16 v10, v63, v13, v10
	v_pk_fma_f16 v68, v54, v2, v68
	v_pk_fma_f16 v2, v64, v2, v10
	v_pk_fma_f16 v68, v55, v3, v68
	v_pk_fma_f16 v2, v65, v3, v2
	v_pk_fma_f16 v68, v56, v0, v68
	v_pk_fma_f16 v0, v66, v0, v2
	v_pk_fma_f16 v68, v57, v1, v68
	v_pk_fma_f16 v0, v67, v1, v0
	v_pack_b32_f16 v1, v68, v0
	v_perm_b32 v0, v0, v68, s9
	v_pk_add_f16 v0, v1, v0
	s_add_i32 s11, s2, 0x500
	v_pk_fma_f16 v20, v0, v7, v20
	v_mov_b32_e32 v0, s11
	s_add_i32 s11, s2, 0x508
	ds_read2_b32 v[10:11], v0 offset1:1
	v_mov_b32_e32 v1, s11
	s_add_i32 s11, s2, 0x510
	v_mov_b32_e32 v2, s11
	s_add_i32 s11, s2, 0x518
	v_mov_b32_e32 v0, s11
	ds_read2_b32 v[12:13], v1 offset1:1
	ds_read2_b32 v[2:3], v2 offset1:1
	ds_read2_b32 v[0:1], v0 offset1:1
	s_waitcnt lgkmcnt(3)
	v_pk_fma_f16 v68, v44, v10, 0
	v_pk_fma_f16 v69, v36, v10, 0
	v_pk_fma_f16 v68, v45, v11, v68
	v_pk_fma_f16 v69, v37, v11, v69
	s_waitcnt lgkmcnt(2)
	v_pk_fma_f16 v68, v46, v12, v68
	v_pk_fma_f16 v69, v38, v12, v69
	v_pk_fma_f16 v68, v47, v13, v68
	v_pk_fma_f16 v69, v39, v13, v69
	s_waitcnt lgkmcnt(1)
	v_pk_fma_f16 v68, v58, v2, v68
	v_pk_fma_f16 v69, v40, v2, v69
	v_pk_fma_f16 v68, v59, v3, v68
	v_pk_fma_f16 v69, v41, v3, v69
	s_waitcnt lgkmcnt(0)
	v_pk_fma_f16 v68, v48, v0, v68
	v_pk_fma_f16 v69, v42, v0, v69
	v_pk_fma_f16 v68, v49, v1, v68
	v_pk_fma_f16 v69, v43, v1, v69
	v_pack_b32_f16 v70, v68, v69
	v_perm_b32 v68, v69, v68, s9
	v_pk_add_f16 v68, v70, v68
	v_pk_fma_f16 v19, v68, v6, v19
	v_pk_fma_f16 v68, v50, v10, 0
	v_pk_fma_f16 v10, v60, v10, 0
	v_pk_fma_f16 v68, v51, v11, v68
	v_pk_fma_f16 v10, v61, v11, v10
	v_pk_fma_f16 v68, v52, v12, v68
	v_pk_fma_f16 v10, v62, v12, v10
	v_pk_fma_f16 v68, v53, v13, v68
	v_pk_fma_f16 v10, v63, v13, v10
	v_pk_fma_f16 v68, v54, v2, v68
	v_pk_fma_f16 v2, v64, v2, v10
	v_pk_fma_f16 v68, v55, v3, v68
	v_pk_fma_f16 v2, v65, v3, v2
	v_pk_fma_f16 v68, v56, v0, v68
	v_pk_fma_f16 v0, v66, v0, v2
	v_pk_fma_f16 v68, v57, v1, v68
	v_pk_fma_f16 v0, v67, v1, v0
	v_pack_b32_f16 v1, v68, v0
	v_perm_b32 v0, v0, v68, s9
	v_pk_add_f16 v0, v1, v0
	s_add_i32 s11, s2, 0x600
	;; [unrolled: 56-line block ×3, first 2 shown]
	v_pk_fma_f16 v16, v0, v7, v16
	v_mov_b32_e32 v0, s11
	s_add_i32 s11, s2, 0x708
	ds_read2_b32 v[0:1], v0 offset1:1
	v_mov_b32_e32 v2, s11
	s_add_i32 s11, s2, 0x710
	v_mov_b32_e32 v10, s11
	s_add_i32 s11, s2, 0x718
	v_mov_b32_e32 v12, s11
	ds_read2_b32 v[2:3], v2 offset1:1
	ds_read2_b32 v[10:11], v10 offset1:1
	;; [unrolled: 1-line block ×3, first 2 shown]
	s_waitcnt lgkmcnt(3)
	v_pk_fma_f16 v44, v44, v0, 0
	v_pk_fma_f16 v36, v36, v0, 0
	v_pk_fma_f16 v44, v45, v1, v44
	v_pk_fma_f16 v36, v37, v1, v36
	s_waitcnt lgkmcnt(2)
	v_pk_fma_f16 v44, v46, v2, v44
	v_pk_fma_f16 v36, v38, v2, v36
	v_pk_fma_f16 v44, v47, v3, v44
	v_pk_fma_f16 v36, v39, v3, v36
	;; [unrolled: 5-line block ×4, first 2 shown]
	v_pack_b32_f16 v37, v44, v36
	v_perm_b32 v36, v36, v44, s9
	v_pk_add_f16 v36, v37, v36
	v_pk_fma_f16 v15, v36, v6, v15
	v_pk_fma_f16 v36, v50, v0, 0
	v_pk_fma_f16 v0, v60, v0, 0
	v_pk_fma_f16 v36, v51, v1, v36
	v_pk_fma_f16 v0, v61, v1, v0
	v_pk_fma_f16 v36, v52, v2, v36
	v_pk_fma_f16 v0, v62, v2, v0
	v_pk_fma_f16 v36, v53, v3, v36
	v_pk_fma_f16 v0, v63, v3, v0
	v_pk_fma_f16 v36, v54, v10, v36
	v_pk_fma_f16 v0, v64, v10, v0
	v_pk_fma_f16 v36, v55, v11, v36
	v_pk_fma_f16 v0, v65, v11, v0
	v_pk_fma_f16 v36, v56, v12, v36
	v_pk_fma_f16 v0, v66, v12, v0
	v_pk_fma_f16 v36, v57, v13, v36
	v_pk_fma_f16 v0, v67, v13, v0
	v_pack_b32_f16 v1, v36, v0
	v_perm_b32 v0, v0, v36, s9
	v_pk_add_f16 v0, v1, v0
	v_pk_fma_f16 v14, v0, v7, v14
	v_mov_b32_e32 v0, s1
	s_add_i32 s2, s2, 32
	s_cmp_ge_i32 s24, s25
	v_addc_co_u32_e32 v9, vcc, v9, v0, vcc
	s_cbranch_scc1 .LBB43_24
.LBB43_22:                              ; =>This Inner Loop Header: Depth=1
	s_cmp_lg_u32 s24, s10
	s_cbranch_scc1 .LBB43_21
; %bb.23:                               ;   in Loop: Header=BB43_22 Depth=1
	s_add_i32 s4, s4, 1
	s_mul_i32 s11, s4, s20
	s_ashr_i32 s12, s11, 31
	s_lshr_b32 s12, s12, 28
	s_add_i32 s12, s11, s12
	s_ashr_i32 s12, s12, 4
	v_add_u32_e32 v0, s12, v28
	v_ashrrev_i32_e32 v1, 31, v0
	v_lshlrev_b64 v[0:1], 2, v[0:1]
	v_mov_b32_e32 v2, s15
	v_add_co_u32_e32 v0, vcc, s14, v0
	v_addc_co_u32_e32 v1, vcc, v2, v1, vcc
	global_load_dword v2, v[0:1], off
	v_add_u32_e32 v0, s11, v4
	v_ashrrev_i32_e32 v1, 31, v0
	v_lshlrev_b64 v[0:1], 1, v[0:1]
	v_mov_b32_e32 v3, s17
	v_add_co_u32_e32 v0, vcc, s16, v0
	v_addc_co_u32_e32 v1, vcc, v3, v1, vcc
	global_load_dwordx2 v[6:7], v[0:1], off
	s_add_i32 s10, s10, s3
	s_waitcnt vmcnt(1)
	v_lshrrev_b32_e32 v0, v31, v2
	v_bfe_u32 v32, v2, v31, 2
	v_bfe_u32 v33, v0, 2, 2
	;; [unrolled: 1-line block ×4, first 2 shown]
	s_branch .LBB43_21
.LBB43_24:
	s_mul_i32 s7, s7, s20
	v_add_u32_e32 v0, s7, v4
	v_ashrrev_i32_e32 v1, 31, v0
	v_lshlrev_b64 v[2:3], 1, v[0:1]
	v_mov_b32_e32 v1, s19
	v_add_co_u32_e32 v2, vcc, s18, v2
	v_addc_co_u32_e32 v3, vcc, v1, v3, vcc
	global_load_dword v5, v[2:3], off
	s_mov_b64 s[0:1], 0
.LBB43_25:                              ; =>This Inner Loop Header: Depth=1
	s_waitcnt vmcnt(0)
	v_pk_add_f16 v4, v30, v5
	global_atomic_cmpswap v1, v[2:3], v[4:5], off glc
	s_waitcnt vmcnt(0)
	v_cmp_eq_u32_e32 vcc, v5, v1
	s_or_b64 s[0:1], vcc, s[0:1]
	v_mov_b32_e32 v5, v1
	s_andn2_b64 exec, exec, s[0:1]
	s_cbranch_execnz .LBB43_25
; %bb.26:
	s_or_b64 exec, exec, s[0:1]
	global_load_dword v5, v[2:3], off offset:4
	s_mov_b64 s[0:1], 0
.LBB43_27:                              ; =>This Inner Loop Header: Depth=1
	s_waitcnt vmcnt(0)
	v_pk_add_f16 v4, v29, v5
	global_atomic_cmpswap v1, v[2:3], v[4:5], off offset:4 glc
	s_waitcnt vmcnt(0)
	v_cmp_eq_u32_e32 vcc, v5, v1
	s_or_b64 s[0:1], vcc, s[0:1]
	v_mov_b32_e32 v5, v1
	s_andn2_b64 exec, exec, s[0:1]
	s_cbranch_execnz .LBB43_27
; %bb.28:
	s_or_b64 exec, exec, s[0:1]
	v_add_u32_e32 v0, s20, v0
	v_ashrrev_i32_e32 v1, 31, v0
	v_lshlrev_b64 v[2:3], 1, v[0:1]
	v_mov_b32_e32 v1, s19
	v_add_co_u32_e32 v2, vcc, s18, v2
	v_addc_co_u32_e32 v3, vcc, v1, v3, vcc
	global_load_dword v5, v[2:3], off
	s_mov_b64 s[0:1], 0
.LBB43_29:                              ; =>This Inner Loop Header: Depth=1
	s_waitcnt vmcnt(0)
	v_pk_add_f16 v4, v27, v5
	global_atomic_cmpswap v1, v[2:3], v[4:5], off glc
	s_waitcnt vmcnt(0)
	v_cmp_eq_u32_e32 vcc, v5, v1
	s_or_b64 s[0:1], vcc, s[0:1]
	v_mov_b32_e32 v5, v1
	s_andn2_b64 exec, exec, s[0:1]
	s_cbranch_execnz .LBB43_29
; %bb.30:
	s_or_b64 exec, exec, s[0:1]
	global_load_dword v5, v[2:3], off offset:4
	s_mov_b64 s[0:1], 0
.LBB43_31:                              ; =>This Inner Loop Header: Depth=1
	s_waitcnt vmcnt(0)
	v_pk_add_f16 v4, v26, v5
	global_atomic_cmpswap v1, v[2:3], v[4:5], off offset:4 glc
	s_waitcnt vmcnt(0)
	v_cmp_eq_u32_e32 vcc, v5, v1
	s_or_b64 s[0:1], vcc, s[0:1]
	v_mov_b32_e32 v5, v1
	s_andn2_b64 exec, exec, s[0:1]
	s_cbranch_execnz .LBB43_31
; %bb.32:
	s_or_b64 exec, exec, s[0:1]
	;; [unrolled: 34-line block ×7, first 2 shown]
	v_add_u32_e32 v0, s20, v0
	v_ashrrev_i32_e32 v1, 31, v0
	v_lshlrev_b64 v[0:1], 1, v[0:1]
	v_mov_b32_e32 v2, s19
	v_add_co_u32_e32 v0, vcc, s18, v0
	v_addc_co_u32_e32 v1, vcc, v2, v1, vcc
	global_load_dword v3, v[0:1], off
	s_mov_b64 s[0:1], 0
.LBB43_53:                              ; =>This Inner Loop Header: Depth=1
	s_waitcnt vmcnt(0)
	v_pk_add_f16 v2, v15, v3
	global_atomic_cmpswap v2, v[0:1], v[2:3], off glc
	s_waitcnt vmcnt(0)
	v_cmp_eq_u32_e32 vcc, v3, v2
	s_or_b64 s[0:1], vcc, s[0:1]
	v_mov_b32_e32 v3, v2
	s_andn2_b64 exec, exec, s[0:1]
	s_cbranch_execnz .LBB43_53
; %bb.54:
	s_or_b64 exec, exec, s[0:1]
	global_load_dword v3, v[0:1], off offset:4
	s_mov_b64 s[0:1], 0
.LBB43_55:                              ; =>This Inner Loop Header: Depth=1
	s_waitcnt vmcnt(0)
	v_pk_add_f16 v2, v14, v3
	global_atomic_cmpswap v2, v[0:1], v[2:3], off offset:4 glc
	s_waitcnt vmcnt(0)
	v_cmp_eq_u32_e32 vcc, v3, v2
	s_or_b64 s[0:1], vcc, s[0:1]
	v_mov_b32_e32 v3, v2
	s_andn2_b64 exec, exec, s[0:1]
	s_cbranch_execnz .LBB43_55
.LBB43_56:
	s_endpgm
	.section	.rodata,"a",@progbits
	.p2align	6, 0x0
	.amdhsa_kernel _ZN4vllm4gptq33gemm_half_q_half_gptq_2bit_kernelILb1ELi8EEEvPK6__halfPKjS6_S4_PS2_iiiibPKi
		.amdhsa_group_segment_fixed_size 2048
		.amdhsa_private_segment_fixed_size 0
		.amdhsa_kernarg_size 72
		.amdhsa_user_sgpr_count 6
		.amdhsa_user_sgpr_private_segment_buffer 1
		.amdhsa_user_sgpr_dispatch_ptr 0
		.amdhsa_user_sgpr_queue_ptr 0
		.amdhsa_user_sgpr_kernarg_segment_ptr 1
		.amdhsa_user_sgpr_dispatch_id 0
		.amdhsa_user_sgpr_flat_scratch_init 0
		.amdhsa_user_sgpr_kernarg_preload_length 0
		.amdhsa_user_sgpr_kernarg_preload_offset 0
		.amdhsa_user_sgpr_private_segment_size 0
		.amdhsa_uses_dynamic_stack 0
		.amdhsa_system_sgpr_private_segment_wavefront_offset 0
		.amdhsa_system_sgpr_workgroup_id_x 1
		.amdhsa_system_sgpr_workgroup_id_y 1
		.amdhsa_system_sgpr_workgroup_id_z 1
		.amdhsa_system_sgpr_workgroup_info 0
		.amdhsa_system_vgpr_workitem_id 0
		.amdhsa_next_free_vgpr 72
		.amdhsa_next_free_sgpr 26
		.amdhsa_accum_offset 72
		.amdhsa_reserve_vcc 1
		.amdhsa_reserve_flat_scratch 0
		.amdhsa_float_round_mode_32 0
		.amdhsa_float_round_mode_16_64 0
		.amdhsa_float_denorm_mode_32 3
		.amdhsa_float_denorm_mode_16_64 3
		.amdhsa_dx10_clamp 1
		.amdhsa_ieee_mode 1
		.amdhsa_fp16_overflow 0
		.amdhsa_tg_split 0
		.amdhsa_exception_fp_ieee_invalid_op 0
		.amdhsa_exception_fp_denorm_src 0
		.amdhsa_exception_fp_ieee_div_zero 0
		.amdhsa_exception_fp_ieee_overflow 0
		.amdhsa_exception_fp_ieee_underflow 0
		.amdhsa_exception_fp_ieee_inexact 0
		.amdhsa_exception_int_div_zero 0
	.end_amdhsa_kernel
	.section	.text._ZN4vllm4gptq33gemm_half_q_half_gptq_2bit_kernelILb1ELi8EEEvPK6__halfPKjS6_S4_PS2_iiiibPKi,"axG",@progbits,_ZN4vllm4gptq33gemm_half_q_half_gptq_2bit_kernelILb1ELi8EEEvPK6__halfPKjS6_S4_PS2_iiiibPKi,comdat
.Lfunc_end43:
	.size	_ZN4vllm4gptq33gemm_half_q_half_gptq_2bit_kernelILb1ELi8EEEvPK6__halfPKjS6_S4_PS2_iiiibPKi, .Lfunc_end43-_ZN4vllm4gptq33gemm_half_q_half_gptq_2bit_kernelILb1ELi8EEEvPK6__halfPKjS6_S4_PS2_iiiibPKi
                                        ; -- End function
	.section	.AMDGPU.csdata,"",@progbits
; Kernel info:
; codeLenInByte = 6992
; NumSgprs: 30
; NumVgprs: 72
; NumAgprs: 0
; TotalNumVgprs: 72
; ScratchSize: 0
; MemoryBound: 0
; FloatMode: 240
; IeeeMode: 1
; LDSByteSize: 2048 bytes/workgroup (compile time only)
; SGPRBlocks: 3
; VGPRBlocks: 8
; NumSGPRsForWavesPerEU: 30
; NumVGPRsForWavesPerEU: 72
; AccumOffset: 72
; Occupancy: 7
; WaveLimiterHint : 0
; COMPUTE_PGM_RSRC2:SCRATCH_EN: 0
; COMPUTE_PGM_RSRC2:USER_SGPR: 6
; COMPUTE_PGM_RSRC2:TRAP_HANDLER: 0
; COMPUTE_PGM_RSRC2:TGID_X_EN: 1
; COMPUTE_PGM_RSRC2:TGID_Y_EN: 1
; COMPUTE_PGM_RSRC2:TGID_Z_EN: 1
; COMPUTE_PGM_RSRC2:TIDIG_COMP_CNT: 0
; COMPUTE_PGM_RSRC3_GFX90A:ACCUM_OFFSET: 17
; COMPUTE_PGM_RSRC3_GFX90A:TG_SPLIT: 0
	.section	.text._ZN4vllm4gptq33gemm_half_q_half_gptq_3bit_kernelILb1ELi8EEEvPK6__halfPKjS6_S4_PS2_iiiibPKi,"axG",@progbits,_ZN4vllm4gptq33gemm_half_q_half_gptq_3bit_kernelILb1ELi8EEEvPK6__halfPKjS6_S4_PS2_iiiibPKi,comdat
	.protected	_ZN4vllm4gptq33gemm_half_q_half_gptq_3bit_kernelILb1ELi8EEEvPK6__halfPKjS6_S4_PS2_iiiibPKi ; -- Begin function _ZN4vllm4gptq33gemm_half_q_half_gptq_3bit_kernelILb1ELi8EEEvPK6__halfPKjS6_S4_PS2_iiiibPKi
	.globl	_ZN4vllm4gptq33gemm_half_q_half_gptq_3bit_kernelILb1ELi8EEEvPK6__halfPKjS6_S4_PS2_iiiibPKi
	.p2align	8
	.type	_ZN4vllm4gptq33gemm_half_q_half_gptq_3bit_kernelILb1ELi8EEEvPK6__halfPKjS6_S4_PS2_iiiibPKi,@function
_ZN4vllm4gptq33gemm_half_q_half_gptq_3bit_kernelILb1ELi8EEEvPK6__halfPKjS6_S4_PS2_iiiibPKi: ; @_ZN4vllm4gptq33gemm_half_q_half_gptq_3bit_kernelILb1ELi8EEEvPK6__halfPKjS6_S4_PS2_iiiibPKi
; %bb.0:
	s_load_dwordx8 s[12:19], s[4:5], 0x8
	s_load_dwordx4 s[20:23], s[4:5], 0x2c
	s_lshl_b32 s25, s8, 7
	s_add_i32 s0, s25, 0x80
	v_cvt_f64_u32_e32 v[2:3], s0
	s_lshl_b32 s24, s7, 3
	s_waitcnt lgkmcnt(0)
	v_cvt_f64_i32_e32 v[4:5], s21
	v_min_f64 v[2:3], v[2:3], v[4:5]
	v_cvt_i32_f64_e32 v1, v[2:3]
	v_add_u32_e32 v2, s25, v0
	v_readfirstlane_b32 s26, v1
	v_cmp_lt_u32_e32 vcc, v2, v1
	s_and_saveexec_b64 s[2:3], vcc
	s_cbranch_execz .LBB44_18
; %bb.1:
	s_load_dwordx2 s[0:1], s[4:5], 0x40
	s_load_dwordx2 s[8:9], s[4:5], 0x0
	v_mov_b32_e32 v3, 0
	v_lshlrev_b64 v[4:5], 2, v[2:3]
	v_pk_mov_b32 v[6:7], v[2:3], v[2:3] op_sel:[0,1]
	s_waitcnt lgkmcnt(0)
	s_cmp_lg_u64 s[0:1], 0
	v_mov_b32_e32 v1, s1
	v_add_co_u32_e32 v4, vcc, s0, v4
	s_cselect_b64 s[4:5], -1, 0
	s_cmp_eq_u64 s[0:1], 0
	v_addc_co_u32_e32 v5, vcc, v1, v5, vcc
	s_cbranch_scc1 .LBB44_3
; %bb.2:
	global_load_dword v6, v[4:5], off
	s_waitcnt vmcnt(0)
	v_ashrrev_i32_e32 v7, 31, v6
.LBB44_3:
	s_mul_i32 s10, s24, s21
	s_ashr_i32 s11, s10, 31
	s_lshl_b64 s[0:1], s[10:11], 1
	s_add_u32 s0, s8, s0
	s_addc_u32 s1, s9, s1
	v_lshlrev_b64 v[6:7], 1, v[6:7]
	v_mov_b32_e32 v1, s1
	v_add_co_u32_e32 v6, vcc, s0, v6
	v_addc_co_u32_e32 v7, vcc, v1, v7, vcc
	global_load_ushort v6, v[6:7], off
	v_lshlrev_b32_e32 v1, 1, v0
	v_cndmask_b32_e64 v7, 0, 1, s[4:5]
	v_cmp_ne_u32_e64 s[0:1], 1, v7
	s_andn2_b64 vcc, exec, s[4:5]
	s_waitcnt vmcnt(0)
	ds_write_b16 v1, v6
	v_pk_mov_b32 v[6:7], v[2:3], v[2:3] op_sel:[0,1]
	s_cbranch_vccnz .LBB44_5
; %bb.4:
	global_load_dword v6, v[4:5], off
	s_waitcnt vmcnt(0)
	v_ashrrev_i32_e32 v7, 31, v6
.LBB44_5:
	s_add_i32 s4, s10, s21
	s_ashr_i32 s5, s4, 31
	s_lshl_b64 s[10:11], s[4:5], 1
	s_add_u32 s5, s8, s10
	s_addc_u32 s7, s9, s11
	v_lshlrev_b64 v[6:7], 1, v[6:7]
	v_mov_b32_e32 v8, s7
	v_add_co_u32_e32 v6, vcc, s5, v6
	v_addc_co_u32_e32 v7, vcc, v8, v7, vcc
	global_load_ushort v6, v[6:7], off
	s_and_b64 vcc, exec, s[0:1]
	s_waitcnt vmcnt(0)
	ds_write_b16 v1, v6 offset:256
	v_pk_mov_b32 v[6:7], v[2:3], v[2:3] op_sel:[0,1]
	s_cbranch_vccnz .LBB44_7
; %bb.6:
	global_load_dword v6, v[4:5], off
	s_waitcnt vmcnt(0)
	v_ashrrev_i32_e32 v7, 31, v6
.LBB44_7:
	s_add_i32 s4, s4, s21
	s_ashr_i32 s5, s4, 31
	s_lshl_b64 s[10:11], s[4:5], 1
	s_add_u32 s5, s8, s10
	s_addc_u32 s7, s9, s11
	v_lshlrev_b64 v[6:7], 1, v[6:7]
	v_mov_b32_e32 v8, s7
	v_add_co_u32_e32 v6, vcc, s5, v6
	v_addc_co_u32_e32 v7, vcc, v8, v7, vcc
	global_load_ushort v6, v[6:7], off
	s_and_b64 vcc, exec, s[0:1]
	s_waitcnt vmcnt(0)
	ds_write_b16 v1, v6 offset:512
	;; [unrolled: 20-line block ×6, first 2 shown]
	s_cbranch_vccnz .LBB44_17
; %bb.16:
	global_load_dword v2, v[4:5], off
	s_waitcnt vmcnt(0)
	v_ashrrev_i32_e32 v3, 31, v2
.LBB44_17:
	s_add_i32 s0, s4, s21
	s_ashr_i32 s1, s0, 31
	s_lshl_b64 s[0:1], s[0:1], 1
	s_add_u32 s0, s8, s0
	s_addc_u32 s1, s9, s1
	v_lshlrev_b64 v[2:3], 1, v[2:3]
	v_mov_b32_e32 v4, s1
	v_add_co_u32_e32 v2, vcc, s0, v2
	v_addc_co_u32_e32 v3, vcc, v4, v3, vcc
	global_load_ushort v2, v[2:3], off
	s_waitcnt vmcnt(0)
	ds_write_b16 v1, v2 offset:1792
.LBB44_18:
	s_or_b64 exec, exec, s[2:3]
	v_lshlrev_b32_e32 v0, 2, v0
	v_lshl_add_u32 v12, s6, 9, v0
	v_cmp_gt_i32_e32 vcc, s20, v12
	s_and_saveexec_b64 s[0:1], vcc
	s_cbranch_execz .LBB44_88
; %bb.19:
	s_abs_i32 s0, s22
	v_cvt_f32_u32_e32 v1, s0
	s_sub_i32 s3, 0, s0
	s_abs_i32 s2, s21
	s_xor_b32 s1, s21, s22
	v_rcp_iflag_f32_e32 v1, v1
	s_ashr_i32 s1, s1, 31
	v_and_b32_e32 v2, 28, v0
	v_cmp_lt_u32_e32 vcc, 4, v2
	v_mul_f32_e32 v1, 0x4f7ffffe, v1
	v_cvt_u32_f32_e32 v1, v1
	s_waitcnt lgkmcnt(0)
	s_barrier
	v_readfirstlane_b32 s4, v1
	s_mul_i32 s3, s3, s4
	s_mul_hi_u32 s3, s4, s3
	s_add_i32 s4, s4, s3
	s_mul_hi_u32 s3, s2, s4
	s_mul_i32 s4, s3, s0
	s_sub_i32 s2, s2, s4
	s_add_i32 s5, s3, 1
	s_sub_i32 s4, s2, s0
	s_cmp_ge_u32 s2, s0
	s_cselect_b32 s3, s5, s3
	s_cselect_b32 s2, s4, s2
	s_add_i32 s4, s3, 1
	s_cmp_ge_u32 s2, s0
	s_cselect_b32 s0, s4, s3
	s_xor_b32 s0, s0, s1
	s_sub_i32 s27, s0, s1
	v_cvt_f32_u32_e32 v1, s27
	s_sub_i32 s0, 0, s27
                                        ; implicit-def: $vgpr3
                                        ; implicit-def: $vgpr4
	v_rcp_iflag_f32_e32 v1, v1
	v_mul_f32_e32 v1, 0x4f7ffffe, v1
	v_cvt_u32_f32_e32 v1, v1
	v_readfirstlane_b32 s1, v1
	s_mul_i32 s0, s0, s1
	s_mul_hi_u32 s0, s1, s0
	s_add_i32 s1, s1, s0
	s_mul_hi_u32 s0, s25, s1
	s_mul_i32 s1, s0, s27
	s_sub_i32 s1, s25, s1
	s_add_i32 s2, s0, 1
	s_sub_i32 s3, s1, s27
	s_cmp_ge_u32 s1, s27
	s_cselect_b32 s0, s2, s0
	s_cselect_b32 s1, s3, s1
	s_add_i32 s2, s0, 1
	s_cmp_ge_u32 s1, s27
	s_cselect_b32 s28, s2, s0
	s_and_saveexec_b64 s[0:1], vcc
	s_xor_b64 s[2:3], exec, s[0:1]
	s_cbranch_execz .LBB44_33
; %bb.20:
	v_cmp_ne_u32_e64 s[0:1], 8, v2
                                        ; implicit-def: $vgpr3
                                        ; implicit-def: $vgpr4
	s_and_saveexec_b64 s[4:5], s[0:1]
	s_xor_b64 s[4:5], exec, s[4:5]
	s_cbranch_execz .LBB44_30
; %bb.21:
	v_cmp_lt_u32_e64 s[0:1], 16, v2
                                        ; implicit-def: $vgpr3
                                        ; implicit-def: $vgpr4
	s_and_saveexec_b64 s[6:7], s[0:1]
	s_xor_b64 s[6:7], exec, s[6:7]
	s_cbranch_execz .LBB44_27
; %bb.22:
	s_mul_i32 s8, s28, s20
	v_lshl_add_u32 v0, v12, 1, v12
	s_ashr_i32 s0, s8, 31
	v_ashrrev_i32_e32 v1, 31, v0
	s_lshr_b32 s0, s0, 27
	v_lshrrev_b32_e32 v1, 27, v1
	s_add_i32 s0, s8, s0
	v_add_u32_e32 v0, v0, v1
	s_ashr_i32 s0, s0, 5
	v_ashrrev_i32_e32 v0, 5, v0
	v_mad_u64_u32 v[0:1], s[0:1], s0, 3, v[0:1]
	v_ashrrev_i32_e32 v1, 31, v0
	v_lshlrev_b64 v[0:1], 2, v[0:1]
	v_mov_b32_e32 v3, s15
	v_add_co_u32_e64 v0, s[0:1], s14, v0
	v_addc_co_u32_e64 v1, s[0:1], v3, v1, s[0:1]
	global_load_dword v5, v[0:1], off
	v_cmp_ne_u32_e64 s[0:1], 20, v2
                                        ; implicit-def: $vgpr3
	s_and_saveexec_b64 s[10:11], s[0:1]
	s_xor_b64 s[0:1], exec, s[10:11]
	s_cbranch_execz .LBB44_24
; %bb.23:
	v_not_b32_e32 v0, 63
	v_mad_u32_u24 v0, v2, 3, v0
	s_waitcnt vmcnt(0)
	v_lshrrev_b32_e32 v3, v0, v5
                                        ; implicit-def: $vgpr0_vgpr1
                                        ; implicit-def: $vgpr5
.LBB44_24:
	s_or_saveexec_b64 s[0:1], s[0:1]
	v_mov_b32_e32 v4, s8
	s_xor_b64 exec, exec, s[0:1]
	s_cbranch_execz .LBB44_26
; %bb.25:
	global_load_dword v0, v[0:1], off offset:4
	v_mov_b32_e32 v4, s8
	s_waitcnt vmcnt(0)
	v_alignbit_b32 v0, v0, v5, 28
	v_and_b32_e32 v3, 0xfff, v0
.LBB44_26:
	s_or_b64 exec, exec, s[0:1]
.LBB44_27:
	s_andn2_saveexec_b64 s[6:7], s[6:7]
	s_cbranch_execz .LBB44_29
; %bb.28:
	s_mul_i32 s8, s28, s20
	v_lshl_add_u32 v0, v12, 1, v12
	s_ashr_i32 s0, s8, 31
	v_ashrrev_i32_e32 v1, 31, v0
	s_lshr_b32 s0, s0, 27
	v_lshrrev_b32_e32 v1, 27, v1
	s_add_i32 s0, s8, s0
	v_add_u32_e32 v0, v0, v1
	s_ashr_i32 s0, s0, 5
	v_ashrrev_i32_e32 v0, 5, v0
	v_mad_u64_u32 v[0:1], s[0:1], s0, 3, v[0:1]
	v_ashrrev_i32_e32 v1, 31, v0
	v_lshlrev_b64 v[0:1], 2, v[0:1]
	v_mov_b32_e32 v3, s15
	v_add_co_u32_e64 v0, s[0:1], s14, v0
	v_addc_co_u32_e64 v1, s[0:1], v3, v1, s[0:1]
	global_load_dword v0, v[0:1], off
	v_not_b32_e32 v1, 31
	v_mad_u32_u24 v1, v2, 3, v1
	v_mov_b32_e32 v4, s8
	s_waitcnt vmcnt(0)
	v_lshrrev_b32_e32 v3, v1, v0
.LBB44_29:
	s_or_b64 exec, exec, s[6:7]
.LBB44_30:
	s_andn2_saveexec_b64 s[4:5], s[4:5]
	s_cbranch_execz .LBB44_32
; %bb.31:
	s_mul_i32 s6, s28, s20
	v_lshl_add_u32 v0, v12, 1, v12
	s_ashr_i32 s0, s6, 31
	v_ashrrev_i32_e32 v1, 31, v0
	s_lshr_b32 s0, s0, 27
	v_lshrrev_b32_e32 v1, 27, v1
	s_add_i32 s0, s6, s0
	v_add_u32_e32 v0, v0, v1
	s_ashr_i32 s0, s0, 5
	v_ashrrev_i32_e32 v0, 5, v0
	v_mad_u64_u32 v[0:1], s[0:1], s0, 3, v[0:1]
	v_ashrrev_i32_e32 v1, 31, v0
	v_lshlrev_b64 v[0:1], 2, v[0:1]
	v_mov_b32_e32 v3, s15
	v_add_co_u32_e64 v0, s[0:1], s14, v0
	v_addc_co_u32_e64 v1, s[0:1], v3, v1, s[0:1]
	global_load_dwordx2 v[0:1], v[0:1], off
	s_mov_b32 s0, 0x2010007
	v_mov_b32_e32 v4, s6
	s_waitcnt vmcnt(0)
	v_perm_b32 v0, v0, v1, s0
	v_and_b32_e32 v3, 0xfff, v0
.LBB44_32:
	s_or_b64 exec, exec, s[4:5]
.LBB44_33:
	s_or_saveexec_b64 s[2:3], s[2:3]
	v_lshl_add_u32 v0, v12, 1, v12
	v_ashrrev_i32_e32 v1, 31, v0
	v_mul_u32_u24_e32 v34, 3, v2
	s_xor_b64 exec, exec, s[2:3]
	s_cbranch_execz .LBB44_35
; %bb.34:
	s_mul_i32 s4, s28, s20
	s_ashr_i32 s0, s4, 31
	s_lshr_b32 s0, s0, 27
	v_lshrrev_b32_e32 v3, 27, v1
	s_add_i32 s0, s4, s0
	v_add_u32_e32 v3, v0, v3
	s_ashr_i32 s0, s0, 5
	v_ashrrev_i32_e32 v4, 5, v3
	s_waitcnt vmcnt(0)
	v_mad_u64_u32 v[4:5], s[0:1], s0, 3, v[4:5]
	v_ashrrev_i32_e32 v5, 31, v4
	v_lshlrev_b64 v[4:5], 2, v[4:5]
	v_mov_b32_e32 v3, s15
	v_add_co_u32_e64 v4, s[0:1], s14, v4
	v_addc_co_u32_e64 v5, s[0:1], v3, v5, s[0:1]
	global_load_dword v3, v[4:5], off
	v_mov_b32_e32 v4, s4
	s_waitcnt vmcnt(0)
	v_lshrrev_b32_e32 v3, v34, v3
.LBB44_35:
	s_or_b64 exec, exec, s[2:3]
	s_cmp_ge_i32 s25, s26
	v_mov_b32_e32 v38, 0
	v_mov_b32_e32 v37, 0
	;; [unrolled: 1-line block ×16, first 2 shown]
	s_cbranch_scc1 .LBB44_56
; %bb.36:
	v_add_u32_e32 v4, v4, v12
	s_waitcnt vmcnt(0)
	v_ashrrev_i32_e32 v5, 31, v4
	v_lshlrev_b64 v[4:5], 1, v[4:5]
	v_mov_b32_e32 v6, s17
	v_add_co_u32_e64 v4, s[0:1], s16, v4
	v_addc_co_u32_e64 v5, s[0:1], v6, v5, s[0:1]
	global_load_dwordx2 v[18:19], v[4:5], off
	s_lshr_b32 s0, s25, 5
	s_mul_i32 s0, s0, s20
	s_mul_i32 s6, s0, 3
	s_add_i32 s29, s27, s25
	s_ashr_i32 s7, s6, 31
	s_bitcmp1_b32 s23, 0
	v_lshrrev_b32_e32 v1, 27, v1
	s_cselect_b64 s[0:1], -1, 0
	v_add_u32_e32 v0, v0, v1
	s_xor_b64 s[0:1], s[0:1], -1
	v_ashrrev_i32_e32 v14, 5, v0
	v_not_b32_e32 v0, 63
	s_ashr_i32 s21, s20, 31
	s_lshl_b64 s[6:7], s[6:7], 2
	v_ashrrev_i32_e32 v13, 31, v12
	v_mad_u32_u24 v40, v2, 3, v0
	v_not_b32_e32 v0, 31
	s_add_u32 s6, s12, s6
	v_mad_u32_u24 v41, v2, 3, v0
	v_lshlrev_b64 v[0:1], 2, v[12:13]
	s_addc_u32 s7, s13, s7
	v_cndmask_b32_e64 v39, 0, 1, s[0:1]
	v_cmp_ne_u32_e64 s[0:1], 8, v2
	v_cmp_lt_u32_e64 s[2:3], 16, v2
	v_cmp_ne_u32_e64 s[4:5], 20, v2
	v_mov_b32_e32 v2, s7
	v_add_co_u32_e64 v16, s[6:7], s6, v0
	v_and_b32_e32 v42, 7, v3
	v_bfe_u32 v43, v3, 3, 3
	v_bfe_u32 v44, v3, 6, 3
	;; [unrolled: 1-line block ×3, first 2 shown]
	v_addc_co_u32_e64 v17, s[6:7], v2, v1, s[6:7]
	s_mul_hi_i32 s30, s20, 12
	s_mul_i32 s31, s20, 12
	s_lshl_b64 s[8:9], s[20:21], 2
	s_mov_b32 s21, 0
	v_mov_b32_e32 v13, 0
	s_mov_b32 s33, 0x2010007
	s_mov_b32 s34, 0x64006400
	;; [unrolled: 1-line block ×3, first 2 shown]
	s_movk_i32 s36, 0x3000
	s_movk_i32 s37, 0x2400
	s_mov_b32 s38, 0x7060302
	v_mov_b32_e32 v15, 0
	v_mov_b32_e32 v24, 0
	;; [unrolled: 1-line block ×15, first 2 shown]
	s_branch .LBB44_39
.LBB44_37:                              ;   in Loop: Header=BB44_39 Depth=1
	s_or_b64 exec, exec, s[6:7]
	v_add_u32_e32 v0, s39, v12
	v_ashrrev_i32_e32 v1, 31, v0
	v_lshlrev_b64 v[0:1], 1, v[0:1]
	s_waitcnt vmcnt(0)
	v_mov_b32_e32 v3, s17
	v_add_co_u32_e64 v0, s[6:7], s16, v0
	v_addc_co_u32_e64 v1, s[6:7], v3, v1, s[6:7]
	global_load_dwordx2 v[18:19], v[0:1], off
	s_add_i32 s29, s29, s27
	v_and_b32_e32 v42, 7, v2
	v_bfe_u32 v43, v2, 3, 3
	v_bfe_u32 v44, v2, 6, 3
	;; [unrolled: 1-line block ×3, first 2 shown]
.LBB44_38:                              ;   in Loop: Header=BB44_39 Depth=1
	v_mov_b32_e32 v2, s9
	v_add_co_u32_e64 v0, s[6:7], s8, v16
	v_addc_co_u32_e64 v1, s[6:7], v17, v2, s[6:7]
	global_load_dwordx4 v[8:11], v[16:17], off
	global_load_dwordx4 v[4:7], v[0:1], off
	v_add_co_u32_e64 v0, s[6:7], s8, v0
	v_addc_co_u32_e64 v1, s[6:7], v1, v2, s[6:7]
	global_load_dwordx4 v[0:3], v[0:1], off
	v_add_u32_e32 v20, v42, v39
	v_add_u32_e32 v21, v43, v39
	;; [unrolled: 1-line block ×4, first 2 shown]
	v_or_b32_e32 v47, 0xffffe400, v20
	v_cvt_f32_i32_e32 v48, v20
	v_or_b32_e32 v77, 0xffffe400, v21
	v_cvt_f32_i32_e32 v21, v21
	;; [unrolled: 2-line block ×4, first 2 shown]
	v_cvt_f16_f32_e32 v21, v21
	v_cvt_f16_f32_e32 v22, v22
	;; [unrolled: 1-line block ×4, first 2 shown]
	v_sub_f16_e32 v75, 0xd800, v21
	v_sub_f16_e32 v76, 0xcc00, v21
	;; [unrolled: 1-line block ×8, first 2 shown]
	v_mov_b32_e32 v110, s21
	s_add_i32 s6, s21, 0x400
	s_add_i32 s25, s25, 32
	s_waitcnt vmcnt(2)
	v_lshrrev_b32_e32 v49, 6, v8
	v_and_b32_e32 v46, 0x70007, v8
	v_and_b32_e32 v51, 0x380038, v49
	s_waitcnt vmcnt(1)
	v_lshrrev_b32_e32 v57, 6, v4
	v_and_b32_e32 v48, 0x380038, v8
	v_or_b32_e32 v46, 0x64006400, v46
	v_and_b32_e32 v50, 0x70007, v49
	v_and_b32_e32 v49, 0x1c001c0, v49
	v_or_b32_e32 v51, 0x64006400, v51
	v_and_b32_e32 v52, 0x70007, v4
	v_and_b32_e32 v56, 0x380038, v4
	v_lshrrev_b32_e32 v4, 14, v4
	v_and_b32_e32 v60, 0x1c001c0, v57
	s_waitcnt vmcnt(0)
	v_lshrrev_b32_e32 v64, 6, v0
	v_lshrrev_b32_e32 v8, 15, v8
	v_or_b32_e32 v48, 0x64006400, v48
	v_or_b32_e32 v50, 0x64006400, v50
	;; [unrolled: 1-line block ×3, first 2 shown]
	v_pk_add_f16 v54, v47, v46 op_sel_hi:[0,1]
	v_or_b32_e32 v46, 0x64006400, v52
	v_and_b32_e32 v52, 0x70007, v57
	v_and_b32_e32 v59, 0x380038, v57
	;; [unrolled: 1-line block ×4, first 2 shown]
	v_pk_fma_f16 v57, v51, s36, v53 op_sel_hi:[1,0,0]
	v_or_b32_e32 v51, 0x64006400, v60
	v_and_b32_e32 v60, 0x70007, v64
	v_pk_fma_f16 v55, v48, s36, v53 op_sel_hi:[1,0,0]
	v_or_b32_e32 v48, 0x64006400, v56
	v_and_b32_e32 v63, 0x380038, v0
	v_pk_add_f16 v56, v47, v50 op_sel_hi:[0,1]
	v_pk_fma_f16 v58, v49, s37, v62 op_sel_hi:[1,0,0]
	v_or_b32_e32 v49, 0x64006400, v52
	v_or_b32_e32 v50, 0x64006400, v59
	;; [unrolled: 1-line block ×3, first 2 shown]
	v_and_b32_e32 v65, 0x380038, v64
	v_and_b32_e32 v64, 0x1c001c0, v64
	v_and_or_b32 v4, v8, s35, v4
	v_or_b32_e32 v8, 0x64006400, v60
	v_or_b32_e32 v63, 0x64006400, v63
	v_pk_add_f16 v61, v47, v46 op_sel_hi:[0,1]
	v_pk_fma_f16 v59, v48, s36, v53 op_sel_hi:[1,0,0]
	v_or_b32_e32 v46, 0x64006400, v65
	v_or_b32_e32 v64, 0x64006400, v64
	v_pk_fma_f16 v48, v50, s36, v53 op_sel_hi:[1,0,0]
	v_pk_add_f16 v50, v47, v52 op_sel_hi:[0,1]
	v_pk_add_f16 v52, v47, v8 op_sel_hi:[0,1]
	v_lshrrev_b32_e32 v8, 6, v9
	v_pk_add_f16 v60, v47, v49 op_sel_hi:[0,1]
	v_pk_fma_f16 v49, v51, s37, v62 op_sel_hi:[1,0,0]
	v_pk_fma_f16 v51, v63, s36, v53 op_sel_hi:[1,0,0]
	;; [unrolled: 1-line block ×4, first 2 shown]
	v_and_b32_e32 v62, 0x70007, v8
	v_or_b32_e32 v64, 0x64006400, v62
	v_and_b32_e32 v62, 0x380038, v8
	v_or_b32_e32 v65, 0x64006400, v62
	;; [unrolled: 2-line block ×4, first 2 shown]
	v_lshrrev_b32_e32 v62, 6, v5
	v_and_b32_e32 v63, 0x70007, v62
	v_or_b32_e32 v69, 0x64006400, v63
	v_and_b32_e32 v63, 0x380038, v62
	v_and_b32_e32 v62, 0x1c001c0, v62
	v_or_b32_e32 v71, 0x64006400, v62
	v_and_b32_e32 v62, 0x70007, v1
	v_or_b32_e32 v72, 0x64006400, v62
	v_and_b32_e32 v62, 0x380038, v1
	v_lshrrev_b32_e32 v0, 13, v0
	v_or_b32_e32 v73, 0x64006400, v62
	v_lshrrev_b32_e32 v62, 6, v1
	v_and_b32_e32 v0, 0x40004, v0
	v_or_b32_e32 v70, 0x64006400, v63
	v_and_b32_e32 v63, 0x70007, v62
	v_or3_b32 v0, v4, v0, s34
	v_and_b32_e32 v4, 0x380038, v9
	v_or_b32_e32 v74, 0x64006400, v63
	v_and_b32_e32 v63, 0x380038, v62
	v_or_b32_e32 v4, 0x64006400, v4
	v_or_b32_e32 v78, 0x64006400, v63
	v_and_b32_e32 v8, 0x1c001c0, v8
	v_and_b32_e32 v62, 0x1c001c0, v62
	v_pk_fma_f16 v63, v4, s36, v75 op_sel_hi:[1,0,0]
	v_pk_fma_f16 v65, v65, s36, v75 op_sel_hi:[1,0,0]
	;; [unrolled: 1-line block ×6, first 2 shown]
	v_and_b32_e32 v78, 0x380038, v6
	v_or_b32_e32 v8, 0x64006400, v8
	v_or_b32_e32 v79, 0x64006400, v62
	;; [unrolled: 1-line block ×3, first 2 shown]
	v_lshrrev_b32_e32 v78, 6, v6
	v_pk_fma_f16 v66, v8, s37, v76 op_sel_hi:[1,0,0]
	v_pk_fma_f16 v71, v71, s37, v76 op_sel_hi:[1,0,0]
	;; [unrolled: 1-line block ×3, first 2 shown]
	v_and_b32_e32 v79, 0x70007, v78
	v_or_b32_e32 v85, 0x64006400, v79
	v_and_b32_e32 v79, 0x380038, v78
	v_and_b32_e32 v78, 0x1c001c0, v78
	v_or_b32_e32 v87, 0x64006400, v78
	v_and_b32_e32 v78, 0x70007, v2
	v_lshrrev_b32_e32 v5, 14, v5
	v_or_b32_e32 v88, 0x64006400, v78
	v_and_b32_e32 v78, 0x380038, v2
	v_pk_add_f16 v47, v47, v0 op_sel_hi:[0,1]
	v_and_b32_e32 v0, 0x70007, v9
	v_lshrrev_b32_e32 v9, 15, v9
	v_and_b32_e32 v5, 0x20002, v5
	v_lshrrev_b32_e32 v1, 13, v1
	v_or_b32_e32 v89, 0x64006400, v78
	v_lshrrev_b32_e32 v78, 6, v2
	v_and_b32_e32 v1, 0x40004, v1
	v_and_or_b32 v5, v9, s35, v5
	v_lshrrev_b32_e32 v4, 6, v10
	v_or_b32_e32 v86, 0x64006400, v79
	v_and_b32_e32 v79, 0x70007, v78
	v_or_b32_e32 v0, 0x64006400, v0
	v_or3_b32 v1, v5, v1, s34
	v_and_b32_e32 v5, 0x70007, v4
	v_and_b32_e32 v8, 0x380038, v4
	;; [unrolled: 1-line block ×3, first 2 shown]
	v_or_b32_e32 v90, 0x64006400, v79
	v_and_b32_e32 v79, 0x380038, v78
	v_and_b32_e32 v78, 0x1c001c0, v78
	v_pk_add_f16 v62, v77, v0 op_sel_hi:[0,1]
	v_pk_add_f16 v64, v77, v64 op_sel_hi:[0,1]
	;; [unrolled: 1-line block ×7, first 2 shown]
	v_and_b32_e32 v0, 0x70007, v10
	v_and_b32_e32 v1, 0x380038, v10
	v_or_b32_e32 v4, 0x64006400, v4
	v_lshrrev_b32_e32 v9, 15, v10
	v_and_b32_e32 v10, 0x70007, v6
	v_lshrrev_b32_e32 v6, 14, v6
	v_or_b32_e32 v94, 0x64006400, v78
	v_and_b32_e32 v6, 0x20002, v6
	v_lshrrev_b32_e32 v2, 13, v2
	v_pk_fma_f16 v82, v4, s37, v92 op_sel_hi:[1,0,0]
	v_pk_fma_f16 v87, v87, s37, v92 op_sel_hi:[1,0,0]
	;; [unrolled: 1-line block ×3, first 2 shown]
	v_and_b32_e32 v94, 0x70007, v3
	v_and_b32_e32 v2, 0x40004, v2
	v_and_or_b32 v6, v9, s35, v6
	v_or_b32_e32 v104, 0x64006400, v94
	v_and_b32_e32 v94, 0x380038, v3
	v_or_b32_e32 v1, 0x64006400, v1
	v_or_b32_e32 v8, 0x64006400, v8
	;; [unrolled: 1-line block ×4, first 2 shown]
	v_or3_b32 v2, v6, v2, s34
	v_or_b32_e32 v105, 0x64006400, v94
	v_lshrrev_b32_e32 v94, 6, v3
	v_or_b32_e32 v0, 0x64006400, v0
	v_or_b32_e32 v5, 0x64006400, v5
	v_pk_fma_f16 v79, v1, s36, v91 op_sel_hi:[1,0,0]
	v_pk_fma_f16 v81, v8, s36, v91 op_sel_hi:[1,0,0]
	v_pk_add_f16 v83, v23, v10 op_sel_hi:[0,1]
	v_pk_fma_f16 v84, v84, s36, v91 op_sel_hi:[1,0,0]
	v_pk_fma_f16 v86, v86, s36, v91 op_sel_hi:[1,0,0]
	;; [unrolled: 1-line block ×4, first 2 shown]
	v_pk_add_f16 v93, v23, v2 op_sel_hi:[0,1]
	v_lshrrev_b32_e32 v2, 6, v11
	v_lshrrev_b32_e32 v10, 6, v7
	v_and_b32_e32 v95, 0x70007, v94
	v_pk_add_f16 v78, v23, v0 op_sel_hi:[0,1]
	v_pk_add_f16 v80, v23, v5 op_sel_hi:[0,1]
	;; [unrolled: 1-line block ×5, first 2 shown]
	v_and_b32_e32 v0, 0x70007, v11
	v_and_b32_e32 v1, 0x380038, v11
	;; [unrolled: 1-line block ×5, first 2 shown]
	v_lshrrev_b32_e32 v6, 15, v11
	v_and_b32_e32 v11, 0x70007, v10
	v_and_b32_e32 v23, 0x380038, v10
	;; [unrolled: 1-line block ×3, first 2 shown]
	v_or_b32_e32 v106, 0x64006400, v95
	v_and_b32_e32 v95, 0x380038, v94
	v_and_b32_e32 v94, 0x1c001c0, v94
	v_or_b32_e32 v2, 0x64006400, v2
	v_or_b32_e32 v23, 0x64006400, v23
	;; [unrolled: 1-line block ×4, first 2 shown]
	v_and_b32_e32 v8, 0x70007, v7
	v_and_b32_e32 v9, 0x380038, v7
	v_lshrrev_b32_e32 v7, 14, v7
	v_pk_fma_f16 v98, v2, s37, v22 op_sel_hi:[1,0,0]
	v_pk_fma_f16 v102, v23, s36, v21 op_sel_hi:[1,0,0]
	v_pk_fma_f16 v103, v10, s37, v22 op_sel_hi:[1,0,0]
	v_pk_fma_f16 v108, v108, s37, v22 op_sel_hi:[1,0,0]
	ds_read2_b32 v[22:23], v110 offset1:1
	v_and_b32_e32 v7, 0x20002, v7
	v_lshrrev_b32_e32 v3, 13, v3
	v_and_b32_e32 v3, 0x40004, v3
	v_and_or_b32 v6, v6, s35, v7
	v_or_b32_e32 v0, 0x64006400, v0
	v_or_b32_e32 v1, 0x64006400, v1
	;; [unrolled: 1-line block ×8, first 2 shown]
	v_or3_b32 v3, v6, v3, s34
	v_pk_add_f16 v94, v20, v0 op_sel_hi:[0,1]
	v_pk_fma_f16 v95, v1, s36, v21 op_sel_hi:[1,0,0]
	v_pk_add_f16 v96, v20, v4 op_sel_hi:[0,1]
	v_pk_fma_f16 v97, v5, s36, v21 op_sel_hi:[1,0,0]
	;; [unrolled: 2-line block ×3, first 2 shown]
	v_pk_add_f16 v101, v20, v11 op_sel_hi:[0,1]
	v_pk_add_f16 v104, v20, v104 op_sel_hi:[0,1]
	v_pk_fma_f16 v105, v105, s36, v21 op_sel_hi:[1,0,0]
	v_pk_add_f16 v106, v20, v106 op_sel_hi:[0,1]
	v_pk_fma_f16 v107, v107, s36, v21 op_sel_hi:[1,0,0]
	v_pk_add_f16 v109, v20, v3 op_sel_hi:[0,1]
	ds_read2_b32 v[20:21], v110 offset0:2 offset1:3
	ds_read2_b32 v[10:11], v110 offset0:4 offset1:5
	;; [unrolled: 1-line block ×3, first 2 shown]
	s_waitcnt lgkmcnt(3)
	v_pk_fma_f16 v0, v54, v22, 0
	v_pk_fma_f16 v112, v62, v22, 0
	;; [unrolled: 1-line block ×4, first 2 shown]
	s_waitcnt lgkmcnt(2)
	v_pk_fma_f16 v0, v56, v20, v0
	v_pk_fma_f16 v112, v64, v20, v112
	;; [unrolled: 1-line block ×3, first 2 shown]
	ds_read2_b32 v[6:7], v110 offset0:8 offset1:9
	v_pk_fma_f16 v112, v65, v21, v112
	s_waitcnt lgkmcnt(2)
	v_pk_fma_f16 v0, v58, v10, v0
	v_pk_fma_f16 v112, v66, v10, v112
	;; [unrolled: 1-line block ×4, first 2 shown]
	s_waitcnt lgkmcnt(1)
	v_pk_fma_f16 v0, v59, v8, v0
	v_pk_fma_f16 v112, v68, v8, v112
	;; [unrolled: 1-line block ×3, first 2 shown]
	ds_read2_b32 v[4:5], v110 offset0:10 offset1:11
	ds_read2_b32 v[2:3], v110 offset0:12 offset1:13
	;; [unrolled: 1-line block ×3, first 2 shown]
	v_pk_fma_f16 v112, v69, v9, v112
	s_waitcnt lgkmcnt(3)
	v_pk_fma_f16 v111, v48, v6, v111
	v_pk_fma_f16 v112, v70, v6, v112
	v_pk_fma_f16 v111, v49, v7, v111
	v_pk_fma_f16 v112, v71, v7, v112
	s_waitcnt lgkmcnt(2)
	v_pk_fma_f16 v111, v50, v4, v111
	v_pk_fma_f16 v112, v72, v4, v112
	v_pk_fma_f16 v111, v51, v5, v111
	;; [unrolled: 5-line block ×4, first 2 shown]
	v_pk_fma_f16 v112, v77, v1, v112
	v_pack_b32_f16 v113, v111, v112
	v_perm_b32 v111, v112, v111, s38
	v_pk_add_f16 v111, v113, v111
	v_pk_fma_f16 v38, v111, v18, v38
	v_pk_fma_f16 v111, v78, v22, 0
	;; [unrolled: 1-line block ×29, first 2 shown]
	ds_read2_b32 v[22:23], v110 offset0:64 offset1:65
	v_pk_fma_f16 v111, v92, v0, v111
	v_pk_fma_f16 v0, v108, v0, v2
	;; [unrolled: 1-line block ×4, first 2 shown]
	v_pack_b32_f16 v1, v111, v0
	v_perm_b32 v0, v0, v111, s38
	v_pk_add_f16 v0, v1, v0
	ds_read2_b32 v[20:21], v110 offset0:66 offset1:67
	ds_read2_b32 v[10:11], v110 offset0:68 offset1:69
	;; [unrolled: 1-line block ×3, first 2 shown]
	v_pk_fma_f16 v37, v0, v19, v37
	s_waitcnt lgkmcnt(3)
	v_pk_fma_f16 v0, v54, v22, 0
	v_pk_fma_f16 v112, v62, v22, 0
	;; [unrolled: 1-line block ×4, first 2 shown]
	s_waitcnt lgkmcnt(2)
	v_pk_fma_f16 v0, v56, v20, v0
	v_pk_fma_f16 v112, v64, v20, v112
	;; [unrolled: 1-line block ×3, first 2 shown]
	ds_read2_b32 v[6:7], v110 offset0:72 offset1:73
	v_pk_fma_f16 v112, v65, v21, v112
	s_waitcnt lgkmcnt(2)
	v_pk_fma_f16 v0, v58, v10, v0
	v_pk_fma_f16 v112, v66, v10, v112
	;; [unrolled: 1-line block ×4, first 2 shown]
	s_waitcnt lgkmcnt(1)
	v_pk_fma_f16 v0, v59, v8, v0
	v_pk_fma_f16 v112, v68, v8, v112
	;; [unrolled: 1-line block ×3, first 2 shown]
	ds_read2_b32 v[4:5], v110 offset0:74 offset1:75
	ds_read2_b32 v[2:3], v110 offset0:76 offset1:77
	;; [unrolled: 1-line block ×3, first 2 shown]
	v_pk_fma_f16 v112, v69, v9, v112
	s_waitcnt lgkmcnt(3)
	v_pk_fma_f16 v111, v48, v6, v111
	v_pk_fma_f16 v112, v70, v6, v112
	v_pk_fma_f16 v111, v49, v7, v111
	v_pk_fma_f16 v112, v71, v7, v112
	s_waitcnt lgkmcnt(2)
	v_pk_fma_f16 v111, v50, v4, v111
	v_pk_fma_f16 v112, v72, v4, v112
	v_pk_fma_f16 v111, v51, v5, v111
	;; [unrolled: 5-line block ×4, first 2 shown]
	v_pk_fma_f16 v112, v77, v1, v112
	v_pack_b32_f16 v113, v111, v112
	v_perm_b32 v111, v112, v111, s38
	v_pk_add_f16 v111, v113, v111
	v_pk_fma_f16 v36, v111, v18, v36
	v_pk_fma_f16 v111, v78, v22, 0
	;; [unrolled: 1-line block ×29, first 2 shown]
	ds_read2_b32 v[22:23], v110 offset0:128 offset1:129
	v_pk_fma_f16 v111, v92, v0, v111
	v_pk_fma_f16 v0, v108, v0, v2
	;; [unrolled: 1-line block ×4, first 2 shown]
	v_pack_b32_f16 v1, v111, v0
	v_perm_b32 v0, v0, v111, s38
	v_pk_add_f16 v0, v1, v0
	ds_read2_b32 v[20:21], v110 offset0:130 offset1:131
	ds_read2_b32 v[10:11], v110 offset0:132 offset1:133
	;; [unrolled: 1-line block ×3, first 2 shown]
	v_pk_fma_f16 v35, v0, v19, v35
	s_waitcnt lgkmcnt(3)
	v_pk_fma_f16 v0, v54, v22, 0
	v_pk_fma_f16 v112, v62, v22, 0
	;; [unrolled: 1-line block ×4, first 2 shown]
	s_waitcnt lgkmcnt(2)
	v_pk_fma_f16 v0, v56, v20, v0
	v_pk_fma_f16 v112, v64, v20, v112
	;; [unrolled: 1-line block ×3, first 2 shown]
	ds_read2_b32 v[6:7], v110 offset0:136 offset1:137
	v_pk_fma_f16 v112, v65, v21, v112
	s_waitcnt lgkmcnt(2)
	v_pk_fma_f16 v0, v58, v10, v0
	v_pk_fma_f16 v112, v66, v10, v112
	;; [unrolled: 1-line block ×4, first 2 shown]
	s_waitcnt lgkmcnt(1)
	v_pk_fma_f16 v0, v59, v8, v0
	v_pk_fma_f16 v112, v68, v8, v112
	;; [unrolled: 1-line block ×3, first 2 shown]
	ds_read2_b32 v[4:5], v110 offset0:138 offset1:139
	ds_read2_b32 v[2:3], v110 offset0:140 offset1:141
	;; [unrolled: 1-line block ×3, first 2 shown]
	v_pk_fma_f16 v112, v69, v9, v112
	s_waitcnt lgkmcnt(3)
	v_pk_fma_f16 v111, v48, v6, v111
	v_pk_fma_f16 v112, v70, v6, v112
	v_pk_fma_f16 v111, v49, v7, v111
	v_pk_fma_f16 v112, v71, v7, v112
	s_waitcnt lgkmcnt(2)
	v_pk_fma_f16 v111, v50, v4, v111
	v_pk_fma_f16 v112, v72, v4, v112
	v_pk_fma_f16 v111, v51, v5, v111
	;; [unrolled: 5-line block ×4, first 2 shown]
	v_pk_fma_f16 v112, v77, v1, v112
	v_pack_b32_f16 v113, v111, v112
	v_perm_b32 v111, v112, v111, s38
	v_pk_add_f16 v111, v113, v111
	v_pk_fma_f16 v33, v111, v18, v33
	v_pk_fma_f16 v111, v78, v22, 0
	;; [unrolled: 1-line block ×29, first 2 shown]
	ds_read2_b32 v[22:23], v110 offset0:192 offset1:193
	v_pk_fma_f16 v111, v92, v0, v111
	v_pk_fma_f16 v0, v108, v0, v2
	;; [unrolled: 1-line block ×4, first 2 shown]
	v_pack_b32_f16 v1, v111, v0
	v_perm_b32 v0, v0, v111, s38
	v_pk_add_f16 v0, v1, v0
	ds_read2_b32 v[20:21], v110 offset0:194 offset1:195
	ds_read2_b32 v[10:11], v110 offset0:196 offset1:197
	;; [unrolled: 1-line block ×3, first 2 shown]
	v_pk_fma_f16 v32, v0, v19, v32
	s_waitcnt lgkmcnt(3)
	v_pk_fma_f16 v0, v54, v22, 0
	v_pk_fma_f16 v0, v55, v23, v0
	s_waitcnt lgkmcnt(2)
	v_pk_fma_f16 v0, v56, v20, v0
	v_pk_fma_f16 v0, v57, v21, v0
	ds_read2_b32 v[6:7], v110 offset0:200 offset1:201
	s_waitcnt lgkmcnt(2)
	v_pk_fma_f16 v0, v58, v10, v0
	v_pk_fma_f16 v0, v61, v11, v0
	s_waitcnt lgkmcnt(1)
	v_pk_fma_f16 v0, v59, v8, v0
	v_pk_fma_f16 v111, v60, v9, v0
	ds_read2_b32 v[4:5], v110 offset0:202 offset1:203
	ds_read2_b32 v[2:3], v110 offset0:204 offset1:205
	;; [unrolled: 1-line block ×3, first 2 shown]
	s_waitcnt lgkmcnt(3)
	v_pk_fma_f16 v110, v48, v6, v111
	v_pk_fma_f16 v111, v62, v22, 0
	;; [unrolled: 1-line block ×12, first 2 shown]
	s_waitcnt lgkmcnt(2)
	v_pk_fma_f16 v110, v50, v4, v110
	v_pk_fma_f16 v111, v72, v4, v111
	v_pk_fma_f16 v110, v51, v5, v110
	v_pk_fma_f16 v111, v73, v5, v111
	s_waitcnt lgkmcnt(1)
	v_pk_fma_f16 v110, v52, v2, v110
	v_pk_fma_f16 v111, v74, v2, v111
	v_pk_fma_f16 v110, v53, v3, v110
	v_pk_fma_f16 v111, v75, v3, v111
	;; [unrolled: 5-line block ×3, first 2 shown]
	v_pack_b32_f16 v112, v110, v111
	v_perm_b32 v110, v111, v110, s38
	v_pk_add_f16 v110, v112, v110
	v_pk_fma_f16 v31, v110, v18, v31
	v_pk_fma_f16 v110, v78, v22, 0
	;; [unrolled: 1-line block ×33, first 2 shown]
	v_pack_b32_f16 v1, v110, v0
	v_perm_b32 v0, v0, v110, s38
	v_pk_add_f16 v0, v1, v0
	v_pk_fma_f16 v30, v0, v19, v30
	v_mov_b32_e32 v0, s6
	ds_read2_b32 v[22:23], v0 offset1:1
	s_add_i32 s6, s21, 0x408
	v_mov_b32_e32 v1, s6
	s_add_i32 s6, s21, 0x410
	v_mov_b32_e32 v2, s6
	;; [unrolled: 2-line block ×3, first 2 shown]
	ds_read2_b32 v[20:21], v1 offset1:1
	ds_read2_b32 v[10:11], v2 offset1:1
	;; [unrolled: 1-line block ×3, first 2 shown]
	s_waitcnt lgkmcnt(3)
	v_pk_fma_f16 v0, v54, v22, 0
	v_pk_fma_f16 v0, v55, v23, v0
	s_waitcnt lgkmcnt(2)
	v_pk_fma_f16 v0, v56, v20, v0
	v_pk_fma_f16 v0, v57, v21, v0
	;; [unrolled: 3-line block ×3, first 2 shown]
	v_pk_fma_f16 v111, v62, v22, 0
	s_waitcnt lgkmcnt(0)
	v_pk_fma_f16 v0, v59, v8, v0
	s_add_i32 s6, s21, 0x420
	v_pk_fma_f16 v111, v63, v23, v111
	v_pk_fma_f16 v110, v60, v9, v0
	v_mov_b32_e32 v0, s6
	v_pk_fma_f16 v111, v64, v20, v111
	s_add_i32 s6, s21, 0x428
	ds_read2_b32 v[6:7], v0 offset1:1
	v_pk_fma_f16 v111, v65, v21, v111
	v_mov_b32_e32 v1, s6
	s_add_i32 s6, s21, 0x430
	v_pk_fma_f16 v111, v66, v10, v111
	v_mov_b32_e32 v2, s6
	s_add_i32 s6, s21, 0x438
	v_pk_fma_f16 v111, v67, v11, v111
	v_mov_b32_e32 v0, s6
	v_pk_fma_f16 v111, v68, v8, v111
	ds_read2_b32 v[4:5], v1 offset1:1
	ds_read2_b32 v[2:3], v2 offset1:1
	;; [unrolled: 1-line block ×3, first 2 shown]
	v_pk_fma_f16 v111, v69, v9, v111
	s_waitcnt lgkmcnt(3)
	v_pk_fma_f16 v110, v48, v6, v110
	v_pk_fma_f16 v111, v70, v6, v111
	v_pk_fma_f16 v110, v49, v7, v110
	v_pk_fma_f16 v111, v71, v7, v111
	s_waitcnt lgkmcnt(2)
	v_pk_fma_f16 v110, v50, v4, v110
	v_pk_fma_f16 v111, v72, v4, v111
	v_pk_fma_f16 v110, v51, v5, v110
	;; [unrolled: 5-line block ×4, first 2 shown]
	v_pk_fma_f16 v111, v77, v1, v111
	v_pack_b32_f16 v112, v110, v111
	v_perm_b32 v110, v111, v110, s38
	v_pk_add_f16 v110, v112, v110
	v_pk_fma_f16 v29, v110, v18, v29
	v_pk_fma_f16 v110, v78, v22, 0
	;; [unrolled: 1-line block ×33, first 2 shown]
	v_pack_b32_f16 v1, v110, v0
	v_perm_b32 v0, v0, v110, s38
	v_pk_add_f16 v0, v1, v0
	s_add_i32 s6, s21, 0x500
	v_pk_fma_f16 v28, v0, v19, v28
	v_mov_b32_e32 v0, s6
	ds_read2_b32 v[22:23], v0 offset1:1
	s_add_i32 s6, s21, 0x508
	v_mov_b32_e32 v1, s6
	s_add_i32 s6, s21, 0x510
	v_mov_b32_e32 v2, s6
	;; [unrolled: 2-line block ×3, first 2 shown]
	ds_read2_b32 v[20:21], v1 offset1:1
	ds_read2_b32 v[10:11], v2 offset1:1
	;; [unrolled: 1-line block ×3, first 2 shown]
	s_waitcnt lgkmcnt(3)
	v_pk_fma_f16 v0, v54, v22, 0
	v_pk_fma_f16 v0, v55, v23, v0
	s_waitcnt lgkmcnt(2)
	v_pk_fma_f16 v0, v56, v20, v0
	v_pk_fma_f16 v0, v57, v21, v0
	;; [unrolled: 3-line block ×3, first 2 shown]
	v_pk_fma_f16 v111, v62, v22, 0
	s_waitcnt lgkmcnt(0)
	v_pk_fma_f16 v0, v59, v8, v0
	s_add_i32 s6, s21, 0x520
	v_pk_fma_f16 v111, v63, v23, v111
	v_pk_fma_f16 v110, v60, v9, v0
	v_mov_b32_e32 v0, s6
	v_pk_fma_f16 v111, v64, v20, v111
	s_add_i32 s6, s21, 0x528
	ds_read2_b32 v[6:7], v0 offset1:1
	v_pk_fma_f16 v111, v65, v21, v111
	v_mov_b32_e32 v1, s6
	s_add_i32 s6, s21, 0x530
	v_pk_fma_f16 v111, v66, v10, v111
	v_mov_b32_e32 v2, s6
	s_add_i32 s6, s21, 0x538
	v_pk_fma_f16 v111, v67, v11, v111
	v_mov_b32_e32 v0, s6
	v_pk_fma_f16 v111, v68, v8, v111
	ds_read2_b32 v[4:5], v1 offset1:1
	ds_read2_b32 v[2:3], v2 offset1:1
	;; [unrolled: 1-line block ×3, first 2 shown]
	v_pk_fma_f16 v111, v69, v9, v111
	s_waitcnt lgkmcnt(3)
	v_pk_fma_f16 v110, v48, v6, v110
	v_pk_fma_f16 v111, v70, v6, v111
	v_pk_fma_f16 v110, v49, v7, v110
	v_pk_fma_f16 v111, v71, v7, v111
	s_waitcnt lgkmcnt(2)
	v_pk_fma_f16 v110, v50, v4, v110
	v_pk_fma_f16 v111, v72, v4, v111
	v_pk_fma_f16 v110, v51, v5, v110
	;; [unrolled: 5-line block ×4, first 2 shown]
	v_pk_fma_f16 v111, v77, v1, v111
	v_pack_b32_f16 v112, v110, v111
	v_perm_b32 v110, v111, v110, s38
	v_pk_add_f16 v110, v112, v110
	v_pk_fma_f16 v27, v110, v18, v27
	v_pk_fma_f16 v110, v78, v22, 0
	;; [unrolled: 1-line block ×33, first 2 shown]
	v_pack_b32_f16 v1, v110, v0
	v_perm_b32 v0, v0, v110, s38
	v_pk_add_f16 v0, v1, v0
	s_add_i32 s6, s21, 0x600
	v_pk_fma_f16 v26, v0, v19, v26
	v_mov_b32_e32 v0, s6
	ds_read2_b32 v[22:23], v0 offset1:1
	s_add_i32 s6, s21, 0x608
	v_mov_b32_e32 v1, s6
	s_add_i32 s6, s21, 0x610
	v_mov_b32_e32 v2, s6
	;; [unrolled: 2-line block ×3, first 2 shown]
	ds_read2_b32 v[20:21], v1 offset1:1
	ds_read2_b32 v[10:11], v2 offset1:1
	;; [unrolled: 1-line block ×3, first 2 shown]
	s_waitcnt lgkmcnt(3)
	v_pk_fma_f16 v0, v54, v22, 0
	v_pk_fma_f16 v0, v55, v23, v0
	s_waitcnt lgkmcnt(2)
	v_pk_fma_f16 v0, v56, v20, v0
	v_pk_fma_f16 v0, v57, v21, v0
	;; [unrolled: 3-line block ×3, first 2 shown]
	v_pk_fma_f16 v111, v62, v22, 0
	s_waitcnt lgkmcnt(0)
	v_pk_fma_f16 v0, v59, v8, v0
	s_add_i32 s6, s21, 0x620
	v_pk_fma_f16 v111, v63, v23, v111
	v_pk_fma_f16 v110, v60, v9, v0
	v_mov_b32_e32 v0, s6
	v_pk_fma_f16 v111, v64, v20, v111
	s_add_i32 s6, s21, 0x628
	ds_read2_b32 v[6:7], v0 offset1:1
	v_pk_fma_f16 v111, v65, v21, v111
	v_mov_b32_e32 v1, s6
	s_add_i32 s6, s21, 0x630
	v_pk_fma_f16 v111, v66, v10, v111
	v_mov_b32_e32 v2, s6
	s_add_i32 s6, s21, 0x638
	v_pk_fma_f16 v111, v67, v11, v111
	v_mov_b32_e32 v0, s6
	v_pk_fma_f16 v111, v68, v8, v111
	ds_read2_b32 v[4:5], v1 offset1:1
	ds_read2_b32 v[2:3], v2 offset1:1
	;; [unrolled: 1-line block ×3, first 2 shown]
	v_pk_fma_f16 v111, v69, v9, v111
	s_waitcnt lgkmcnt(3)
	v_pk_fma_f16 v110, v48, v6, v110
	v_pk_fma_f16 v111, v70, v6, v111
	v_pk_fma_f16 v110, v49, v7, v110
	v_pk_fma_f16 v111, v71, v7, v111
	s_waitcnt lgkmcnt(2)
	v_pk_fma_f16 v110, v50, v4, v110
	v_pk_fma_f16 v111, v72, v4, v111
	v_pk_fma_f16 v110, v51, v5, v110
	v_pk_fma_f16 v111, v73, v5, v111
	s_waitcnt lgkmcnt(1)
	v_pk_fma_f16 v110, v52, v2, v110
	v_pk_fma_f16 v111, v74, v2, v111
	v_pk_fma_f16 v110, v53, v3, v110
	v_pk_fma_f16 v111, v75, v3, v111
	s_waitcnt lgkmcnt(0)
	v_pk_fma_f16 v110, v46, v0, v110
	v_pk_fma_f16 v111, v76, v0, v111
	v_pk_fma_f16 v110, v47, v1, v110
	v_pk_fma_f16 v111, v77, v1, v111
	v_pack_b32_f16 v112, v110, v111
	v_perm_b32 v110, v111, v110, s38
	v_pk_add_f16 v110, v112, v110
	v_pk_fma_f16 v25, v110, v18, v25
	v_pk_fma_f16 v110, v78, v22, 0
	;; [unrolled: 1-line block ×33, first 2 shown]
	v_pack_b32_f16 v1, v110, v0
	v_perm_b32 v0, v0, v110, s38
	v_pk_add_f16 v0, v1, v0
	s_add_i32 s6, s21, 0x700
	v_pk_fma_f16 v24, v0, v19, v24
	v_mov_b32_e32 v0, s6
	s_add_i32 s6, s21, 0x708
	ds_read2_b32 v[0:1], v0 offset1:1
	v_mov_b32_e32 v2, s6
	s_add_i32 s6, s21, 0x710
	v_mov_b32_e32 v4, s6
	s_add_i32 s6, s21, 0x718
	v_mov_b32_e32 v6, s6
	ds_read2_b32 v[2:3], v2 offset1:1
	ds_read2_b32 v[4:5], v4 offset1:1
	;; [unrolled: 1-line block ×3, first 2 shown]
	s_waitcnt lgkmcnt(3)
	v_pk_fma_f16 v8, v54, v0, 0
	v_pk_fma_f16 v8, v55, v1, v8
	s_waitcnt lgkmcnt(2)
	v_pk_fma_f16 v8, v56, v2, v8
	v_pk_fma_f16 v8, v57, v3, v8
	;; [unrolled: 3-line block ×3, first 2 shown]
	s_waitcnt lgkmcnt(0)
	v_pk_fma_f16 v8, v59, v6, v8
	s_add_i32 s6, s21, 0x720
	v_pk_fma_f16 v54, v60, v7, v8
	v_mov_b32_e32 v8, s6
	s_add_i32 s6, s21, 0x728
	ds_read2_b32 v[8:9], v8 offset1:1
	v_mov_b32_e32 v10, s6
	s_add_i32 s6, s21, 0x730
	v_mov_b32_e32 v20, s6
	s_add_i32 s6, s21, 0x738
	v_mov_b32_e32 v22, s6
	ds_read2_b32 v[10:11], v10 offset1:1
	ds_read2_b32 v[20:21], v20 offset1:1
	ds_read2_b32 v[22:23], v22 offset1:1
	s_waitcnt lgkmcnt(3)
	v_pk_fma_f16 v48, v48, v8, v54
	v_pk_fma_f16 v48, v49, v9, v48
	s_waitcnt lgkmcnt(2)
	v_pk_fma_f16 v48, v50, v10, v48
	v_pk_fma_f16 v48, v51, v11, v48
	;; [unrolled: 3-line block ×4, first 2 shown]
	v_pk_fma_f16 v47, v62, v0, 0
	v_pk_fma_f16 v47, v63, v1, v47
	;; [unrolled: 1-line block ×16, first 2 shown]
	v_pack_b32_f16 v48, v46, v47
	v_perm_b32 v46, v47, v46, s38
	v_pk_add_f16 v46, v48, v46
	v_pk_fma_f16 v15, v46, v18, v15
	v_pk_fma_f16 v46, v78, v0, 0
	;; [unrolled: 1-line block ×33, first 2 shown]
	v_pack_b32_f16 v1, v46, v0
	v_perm_b32 v0, v0, v46, s38
	v_pk_add_f16 v0, v1, v0
	v_pk_fma_f16 v13, v0, v19, v13
	v_mov_b32_e32 v0, s30
	s_add_i32 s21, s21, 64
	v_add_co_u32_e64 v16, s[6:7], s31, v16
	s_cmp_ge_i32 s25, s26
	v_addc_co_u32_e64 v17, s[6:7], v17, v0, s[6:7]
	s_cbranch_scc1 .LBB44_56
.LBB44_39:                              ; =>This Inner Loop Header: Depth=1
	s_cmp_lg_u32 s25, s29
	s_cbranch_scc1 .LBB44_38
; %bb.40:                               ;   in Loop: Header=BB44_39 Depth=1
	s_add_i32 s28, s28, 1
	s_mul_i32 s39, s28, s20
	s_ashr_i32 s6, s39, 31
	s_lshr_b32 s6, s6, 27
	s_add_i32 s6, s39, s6
	s_ashr_i32 s6, s6, 5
	v_mad_u64_u32 v[0:1], s[6:7], s6, 3, v[14:15]
	v_ashrrev_i32_e32 v1, 31, v0
	v_lshlrev_b64 v[0:1], 2, v[0:1]
	v_mov_b32_e32 v2, s15
	v_add_co_u32_e64 v0, s[6:7], s14, v0
	v_addc_co_u32_e64 v1, s[6:7], v2, v1, s[6:7]
	global_load_dword v3, v[0:1], off
                                        ; implicit-def: $vgpr2
	s_and_saveexec_b64 s[6:7], vcc
	s_xor_b64 s[6:7], exec, s[6:7]
	s_cbranch_execz .LBB44_54
; %bb.41:                               ;   in Loop: Header=BB44_39 Depth=1
                                        ; implicit-def: $vgpr2
	s_and_saveexec_b64 s[10:11], s[0:1]
	s_xor_b64 s[10:11], exec, s[10:11]
	s_cbranch_execz .LBB44_51
; %bb.42:                               ;   in Loop: Header=BB44_39 Depth=1
                                        ; implicit-def: $vgpr2
	s_and_saveexec_b64 s[12:13], s[2:3]
	;; [unrolled: 5-line block ×3, first 2 shown]
	s_xor_b64 s[22:23], exec, s[22:23]
	s_cbranch_execz .LBB44_45
; %bb.44:                               ;   in Loop: Header=BB44_39 Depth=1
	s_waitcnt vmcnt(0)
	v_lshrrev_b32_e32 v2, v40, v3
                                        ; implicit-def: $vgpr0_vgpr1
                                        ; implicit-def: $vgpr3
.LBB44_45:                              ;   in Loop: Header=BB44_39 Depth=1
	s_andn2_saveexec_b64 s[22:23], s[22:23]
	s_cbranch_execz .LBB44_47
; %bb.46:                               ;   in Loop: Header=BB44_39 Depth=1
	global_load_dword v0, v[0:1], off offset:4
	s_waitcnt vmcnt(0)
	v_alignbit_b32 v0, v0, v3, 28
	v_and_b32_e32 v2, 0xfff, v0
.LBB44_47:                              ;   in Loop: Header=BB44_39 Depth=1
	s_or_b64 exec, exec, s[22:23]
                                        ; implicit-def: $vgpr3
.LBB44_48:                              ;   in Loop: Header=BB44_39 Depth=1
	s_andn2_saveexec_b64 s[12:13], s[12:13]
	s_cbranch_execz .LBB44_50
; %bb.49:                               ;   in Loop: Header=BB44_39 Depth=1
	s_waitcnt vmcnt(0)
	v_lshrrev_b32_e32 v2, v41, v3
.LBB44_50:                              ;   in Loop: Header=BB44_39 Depth=1
	s_or_b64 exec, exec, s[12:13]
                                        ; implicit-def: $vgpr0_vgpr1
                                        ; implicit-def: $vgpr3
.LBB44_51:                              ;   in Loop: Header=BB44_39 Depth=1
	s_andn2_saveexec_b64 s[10:11], s[10:11]
	s_cbranch_execz .LBB44_53
; %bb.52:                               ;   in Loop: Header=BB44_39 Depth=1
	global_load_dword v0, v[0:1], off offset:4
	s_waitcnt vmcnt(0)
	v_perm_b32 v0, v3, v0, s33
	v_and_b32_e32 v2, 0xfff, v0
.LBB44_53:                              ;   in Loop: Header=BB44_39 Depth=1
	s_or_b64 exec, exec, s[10:11]
                                        ; implicit-def: $vgpr3
.LBB44_54:                              ;   in Loop: Header=BB44_39 Depth=1
	s_andn2_saveexec_b64 s[6:7], s[6:7]
	s_cbranch_execz .LBB44_37
; %bb.55:                               ;   in Loop: Header=BB44_39 Depth=1
	s_waitcnt vmcnt(0)
	v_lshrrev_b32_e32 v2, v34, v3
	s_branch .LBB44_37
.LBB44_56:
	s_mul_i32 s24, s24, s20
	v_add_u32_e32 v0, s24, v12
	v_ashrrev_i32_e32 v1, 31, v0
	v_lshlrev_b64 v[2:3], 1, v[0:1]
	v_mov_b32_e32 v1, s19
	v_add_co_u32_e32 v2, vcc, s18, v2
	v_addc_co_u32_e32 v3, vcc, v1, v3, vcc
	global_load_dword v5, v[2:3], off
	s_mov_b64 s[0:1], 0
.LBB44_57:                              ; =>This Inner Loop Header: Depth=1
	s_waitcnt vmcnt(0)
	v_pk_add_f16 v4, v38, v5
	global_atomic_cmpswap v1, v[2:3], v[4:5], off glc
	s_waitcnt vmcnt(0)
	v_cmp_eq_u32_e32 vcc, v5, v1
	s_or_b64 s[0:1], vcc, s[0:1]
	v_mov_b32_e32 v5, v1
	s_andn2_b64 exec, exec, s[0:1]
	s_cbranch_execnz .LBB44_57
; %bb.58:
	s_or_b64 exec, exec, s[0:1]
	global_load_dword v5, v[2:3], off offset:4
	s_mov_b64 s[0:1], 0
.LBB44_59:                              ; =>This Inner Loop Header: Depth=1
	s_waitcnt vmcnt(0)
	v_pk_add_f16 v4, v37, v5
	global_atomic_cmpswap v1, v[2:3], v[4:5], off offset:4 glc
	s_waitcnt vmcnt(0)
	v_cmp_eq_u32_e32 vcc, v5, v1
	s_or_b64 s[0:1], vcc, s[0:1]
	v_mov_b32_e32 v5, v1
	s_andn2_b64 exec, exec, s[0:1]
	s_cbranch_execnz .LBB44_59
; %bb.60:
	s_or_b64 exec, exec, s[0:1]
	v_add_u32_e32 v0, s20, v0
	v_ashrrev_i32_e32 v1, 31, v0
	v_lshlrev_b64 v[2:3], 1, v[0:1]
	v_mov_b32_e32 v1, s19
	v_add_co_u32_e32 v2, vcc, s18, v2
	v_addc_co_u32_e32 v3, vcc, v1, v3, vcc
	global_load_dword v5, v[2:3], off
	s_mov_b64 s[0:1], 0
.LBB44_61:                              ; =>This Inner Loop Header: Depth=1
	s_waitcnt vmcnt(0)
	v_pk_add_f16 v4, v36, v5
	global_atomic_cmpswap v1, v[2:3], v[4:5], off glc
	s_waitcnt vmcnt(0)
	v_cmp_eq_u32_e32 vcc, v5, v1
	s_or_b64 s[0:1], vcc, s[0:1]
	v_mov_b32_e32 v5, v1
	s_andn2_b64 exec, exec, s[0:1]
	s_cbranch_execnz .LBB44_61
; %bb.62:
	s_or_b64 exec, exec, s[0:1]
	global_load_dword v5, v[2:3], off offset:4
	s_mov_b64 s[0:1], 0
.LBB44_63:                              ; =>This Inner Loop Header: Depth=1
	s_waitcnt vmcnt(0)
	v_pk_add_f16 v4, v35, v5
	global_atomic_cmpswap v1, v[2:3], v[4:5], off offset:4 glc
	s_waitcnt vmcnt(0)
	v_cmp_eq_u32_e32 vcc, v5, v1
	s_or_b64 s[0:1], vcc, s[0:1]
	v_mov_b32_e32 v5, v1
	s_andn2_b64 exec, exec, s[0:1]
	s_cbranch_execnz .LBB44_63
; %bb.64:
	s_or_b64 exec, exec, s[0:1]
	;; [unrolled: 34-line block ×7, first 2 shown]
	v_add_u32_e32 v0, s20, v0
	v_ashrrev_i32_e32 v1, 31, v0
	v_lshlrev_b64 v[0:1], 1, v[0:1]
	v_mov_b32_e32 v2, s19
	v_add_co_u32_e32 v0, vcc, s18, v0
	v_addc_co_u32_e32 v1, vcc, v2, v1, vcc
	global_load_dword v3, v[0:1], off
	s_mov_b64 s[0:1], 0
.LBB44_85:                              ; =>This Inner Loop Header: Depth=1
	s_waitcnt vmcnt(0)
	v_pk_add_f16 v2, v15, v3
	global_atomic_cmpswap v2, v[0:1], v[2:3], off glc
	s_waitcnt vmcnt(0)
	v_cmp_eq_u32_e32 vcc, v3, v2
	s_or_b64 s[0:1], vcc, s[0:1]
	v_mov_b32_e32 v3, v2
	s_andn2_b64 exec, exec, s[0:1]
	s_cbranch_execnz .LBB44_85
; %bb.86:
	s_or_b64 exec, exec, s[0:1]
	global_load_dword v3, v[0:1], off offset:4
	s_mov_b64 s[0:1], 0
.LBB44_87:                              ; =>This Inner Loop Header: Depth=1
	s_waitcnt vmcnt(0)
	v_pk_add_f16 v2, v13, v3
	global_atomic_cmpswap v2, v[0:1], v[2:3], off offset:4 glc
	s_waitcnt vmcnt(0)
	v_cmp_eq_u32_e32 vcc, v3, v2
	s_or_b64 s[0:1], vcc, s[0:1]
	v_mov_b32_e32 v3, v2
	s_andn2_b64 exec, exec, s[0:1]
	s_cbranch_execnz .LBB44_87
.LBB44_88:
	s_endpgm
	.section	.rodata,"a",@progbits
	.p2align	6, 0x0
	.amdhsa_kernel _ZN4vllm4gptq33gemm_half_q_half_gptq_3bit_kernelILb1ELi8EEEvPK6__halfPKjS6_S4_PS2_iiiibPKi
		.amdhsa_group_segment_fixed_size 2048
		.amdhsa_private_segment_fixed_size 0
		.amdhsa_kernarg_size 72
		.amdhsa_user_sgpr_count 6
		.amdhsa_user_sgpr_private_segment_buffer 1
		.amdhsa_user_sgpr_dispatch_ptr 0
		.amdhsa_user_sgpr_queue_ptr 0
		.amdhsa_user_sgpr_kernarg_segment_ptr 1
		.amdhsa_user_sgpr_dispatch_id 0
		.amdhsa_user_sgpr_flat_scratch_init 0
		.amdhsa_user_sgpr_kernarg_preload_length 0
		.amdhsa_user_sgpr_kernarg_preload_offset 0
		.amdhsa_user_sgpr_private_segment_size 0
		.amdhsa_uses_dynamic_stack 0
		.amdhsa_system_sgpr_private_segment_wavefront_offset 0
		.amdhsa_system_sgpr_workgroup_id_x 1
		.amdhsa_system_sgpr_workgroup_id_y 1
		.amdhsa_system_sgpr_workgroup_id_z 1
		.amdhsa_system_sgpr_workgroup_info 0
		.amdhsa_system_vgpr_workitem_id 0
		.amdhsa_next_free_vgpr 114
		.amdhsa_next_free_sgpr 40
		.amdhsa_accum_offset 116
		.amdhsa_reserve_vcc 1
		.amdhsa_reserve_flat_scratch 0
		.amdhsa_float_round_mode_32 0
		.amdhsa_float_round_mode_16_64 0
		.amdhsa_float_denorm_mode_32 3
		.amdhsa_float_denorm_mode_16_64 3
		.amdhsa_dx10_clamp 1
		.amdhsa_ieee_mode 1
		.amdhsa_fp16_overflow 0
		.amdhsa_tg_split 0
		.amdhsa_exception_fp_ieee_invalid_op 0
		.amdhsa_exception_fp_denorm_src 0
		.amdhsa_exception_fp_ieee_div_zero 0
		.amdhsa_exception_fp_ieee_overflow 0
		.amdhsa_exception_fp_ieee_underflow 0
		.amdhsa_exception_fp_ieee_inexact 0
		.amdhsa_exception_int_div_zero 0
	.end_amdhsa_kernel
	.section	.text._ZN4vllm4gptq33gemm_half_q_half_gptq_3bit_kernelILb1ELi8EEEvPK6__halfPKjS6_S4_PS2_iiiibPKi,"axG",@progbits,_ZN4vllm4gptq33gemm_half_q_half_gptq_3bit_kernelILb1ELi8EEEvPK6__halfPKjS6_S4_PS2_iiiibPKi,comdat
.Lfunc_end44:
	.size	_ZN4vllm4gptq33gemm_half_q_half_gptq_3bit_kernelILb1ELi8EEEvPK6__halfPKjS6_S4_PS2_iiiibPKi, .Lfunc_end44-_ZN4vllm4gptq33gemm_half_q_half_gptq_3bit_kernelILb1ELi8EEEvPK6__halfPKjS6_S4_PS2_iiiibPKi
                                        ; -- End function
	.section	.AMDGPU.csdata,"",@progbits
; Kernel info:
; codeLenInByte = 11400
; NumSgprs: 44
; NumVgprs: 114
; NumAgprs: 0
; TotalNumVgprs: 114
; ScratchSize: 0
; MemoryBound: 0
; FloatMode: 240
; IeeeMode: 1
; LDSByteSize: 2048 bytes/workgroup (compile time only)
; SGPRBlocks: 5
; VGPRBlocks: 14
; NumSGPRsForWavesPerEU: 44
; NumVGPRsForWavesPerEU: 114
; AccumOffset: 116
; Occupancy: 4
; WaveLimiterHint : 0
; COMPUTE_PGM_RSRC2:SCRATCH_EN: 0
; COMPUTE_PGM_RSRC2:USER_SGPR: 6
; COMPUTE_PGM_RSRC2:TRAP_HANDLER: 0
; COMPUTE_PGM_RSRC2:TGID_X_EN: 1
; COMPUTE_PGM_RSRC2:TGID_Y_EN: 1
; COMPUTE_PGM_RSRC2:TGID_Z_EN: 1
; COMPUTE_PGM_RSRC2:TIDIG_COMP_CNT: 0
; COMPUTE_PGM_RSRC3_GFX90A:ACCUM_OFFSET: 28
; COMPUTE_PGM_RSRC3_GFX90A:TG_SPLIT: 0
	.section	.text._ZN4vllm4gptq33gemm_half_q_half_gptq_4bit_kernelILb1ELi8EEEvPK6__halfPKjS6_S4_PS2_iiiibPKi,"axG",@progbits,_ZN4vllm4gptq33gemm_half_q_half_gptq_4bit_kernelILb1ELi8EEEvPK6__halfPKjS6_S4_PS2_iiiibPKi,comdat
	.protected	_ZN4vllm4gptq33gemm_half_q_half_gptq_4bit_kernelILb1ELi8EEEvPK6__halfPKjS6_S4_PS2_iiiibPKi ; -- Begin function _ZN4vllm4gptq33gemm_half_q_half_gptq_4bit_kernelILb1ELi8EEEvPK6__halfPKjS6_S4_PS2_iiiibPKi
	.globl	_ZN4vllm4gptq33gemm_half_q_half_gptq_4bit_kernelILb1ELi8EEEvPK6__halfPKjS6_S4_PS2_iiiibPKi
	.p2align	8
	.type	_ZN4vllm4gptq33gemm_half_q_half_gptq_4bit_kernelILb1ELi8EEEvPK6__halfPKjS6_S4_PS2_iiiibPKi,@function
_ZN4vllm4gptq33gemm_half_q_half_gptq_4bit_kernelILb1ELi8EEEvPK6__halfPKjS6_S4_PS2_iiiibPKi: ; @_ZN4vllm4gptq33gemm_half_q_half_gptq_4bit_kernelILb1ELi8EEEvPK6__halfPKjS6_S4_PS2_iiiibPKi
; %bb.0:
	s_mov_b64 s[30:31], s[2:3]
	s_load_dwordx8 s[12:19], s[4:5], 0x8
	s_load_dwordx4 s[20:23], s[4:5], 0x2c
	s_mov_b64 s[28:29], s[0:1]
	s_add_u32 s28, s28, s9
	s_addc_u32 s29, s29, 0
	s_lshl_b32 s24, s8, 7
	s_add_i32 s0, s24, 0x80
	v_cvt_f64_u32_e32 v[2:3], s0
	s_waitcnt lgkmcnt(0)
	v_cvt_f64_i32_e32 v[4:5], s21
	v_min_f64 v[2:3], v[2:3], v[4:5]
	v_cvt_i32_f64_e32 v1, v[2:3]
	v_add_u32_e32 v2, s24, v0
	s_lshl_b32 s7, s7, 3
	v_readfirstlane_b32 s25, v1
	v_cmp_lt_u32_e32 vcc, v2, v1
	s_and_saveexec_b64 s[2:3], vcc
	s_cbranch_execz .LBB45_18
; %bb.1:
	s_load_dwordx2 s[0:1], s[4:5], 0x40
	s_load_dwordx2 s[8:9], s[4:5], 0x0
	v_mov_b32_e32 v3, 0
	v_lshlrev_b64 v[4:5], 2, v[2:3]
	v_pk_mov_b32 v[6:7], v[2:3], v[2:3] op_sel:[0,1]
	s_waitcnt lgkmcnt(0)
	s_cmp_lg_u64 s[0:1], 0
	v_mov_b32_e32 v1, s1
	v_add_co_u32_e32 v4, vcc, s0, v4
	s_cselect_b64 s[4:5], -1, 0
	s_cmp_eq_u64 s[0:1], 0
	v_addc_co_u32_e32 v5, vcc, v1, v5, vcc
	s_cbranch_scc1 .LBB45_3
; %bb.2:
	global_load_dword v6, v[4:5], off
	s_waitcnt vmcnt(0)
	v_ashrrev_i32_e32 v7, 31, v6
.LBB45_3:
	s_mul_i32 s10, s7, s21
	s_ashr_i32 s11, s10, 31
	s_lshl_b64 s[0:1], s[10:11], 1
	s_add_u32 s0, s8, s0
	s_addc_u32 s1, s9, s1
	v_lshlrev_b64 v[6:7], 1, v[6:7]
	v_mov_b32_e32 v1, s1
	v_add_co_u32_e32 v6, vcc, s0, v6
	v_addc_co_u32_e32 v7, vcc, v1, v7, vcc
	global_load_ushort v6, v[6:7], off
	v_lshlrev_b32_e32 v1, 1, v0
	v_cndmask_b32_e64 v7, 0, 1, s[4:5]
	v_cmp_ne_u32_e64 s[0:1], 1, v7
	s_andn2_b64 vcc, exec, s[4:5]
	s_waitcnt vmcnt(0)
	ds_write_b16 v1, v6
	v_pk_mov_b32 v[6:7], v[2:3], v[2:3] op_sel:[0,1]
	s_cbranch_vccnz .LBB45_5
; %bb.4:
	global_load_dword v6, v[4:5], off
	s_waitcnt vmcnt(0)
	v_ashrrev_i32_e32 v7, 31, v6
.LBB45_5:
	s_add_i32 s4, s10, s21
	s_ashr_i32 s5, s4, 31
	s_lshl_b64 s[10:11], s[4:5], 1
	s_add_u32 s5, s8, s10
	s_addc_u32 s10, s9, s11
	v_lshlrev_b64 v[6:7], 1, v[6:7]
	v_mov_b32_e32 v8, s10
	v_add_co_u32_e32 v6, vcc, s5, v6
	v_addc_co_u32_e32 v7, vcc, v8, v7, vcc
	global_load_ushort v6, v[6:7], off
	s_and_b64 vcc, exec, s[0:1]
	s_waitcnt vmcnt(0)
	ds_write_b16 v1, v6 offset:256
	v_pk_mov_b32 v[6:7], v[2:3], v[2:3] op_sel:[0,1]
	s_cbranch_vccnz .LBB45_7
; %bb.6:
	global_load_dword v6, v[4:5], off
	s_waitcnt vmcnt(0)
	v_ashrrev_i32_e32 v7, 31, v6
.LBB45_7:
	s_add_i32 s4, s4, s21
	s_ashr_i32 s5, s4, 31
	s_lshl_b64 s[10:11], s[4:5], 1
	s_add_u32 s5, s8, s10
	s_addc_u32 s10, s9, s11
	v_lshlrev_b64 v[6:7], 1, v[6:7]
	v_mov_b32_e32 v8, s10
	v_add_co_u32_e32 v6, vcc, s5, v6
	v_addc_co_u32_e32 v7, vcc, v8, v7, vcc
	global_load_ushort v6, v[6:7], off
	s_and_b64 vcc, exec, s[0:1]
	s_waitcnt vmcnt(0)
	ds_write_b16 v1, v6 offset:512
	;; [unrolled: 20-line block ×6, first 2 shown]
	s_cbranch_vccnz .LBB45_17
; %bb.16:
	global_load_dword v2, v[4:5], off
	s_waitcnt vmcnt(0)
	v_ashrrev_i32_e32 v3, 31, v2
.LBB45_17:
	s_add_i32 s0, s4, s21
	s_ashr_i32 s1, s0, 31
	s_lshl_b64 s[0:1], s[0:1], 1
	s_add_u32 s0, s8, s0
	s_addc_u32 s1, s9, s1
	v_lshlrev_b64 v[2:3], 1, v[2:3]
	v_mov_b32_e32 v4, s1
	v_add_co_u32_e32 v2, vcc, s0, v2
	v_addc_co_u32_e32 v3, vcc, v4, v3, vcc
	global_load_ushort v2, v[2:3], off
	s_waitcnt vmcnt(0)
	ds_write_b16 v1, v2 offset:1792
.LBB45_18:
	s_or_b64 exec, exec, s[2:3]
	v_lshlrev_b32_e32 v1, 2, v0
	v_lshl_add_u32 v4, s6, 9, v1
	v_mov_b32_e32 v2, v4
	v_cmp_gt_i32_e32 vcc, s20, v4
	buffer_store_dword v2, off, s[28:31], 0 offset:164 ; 4-byte Folded Spill
	s_nop 0
	buffer_store_dword v3, off, s[28:31], 0 offset:168 ; 4-byte Folded Spill
	s_and_saveexec_b64 s[0:1], vcc
	s_cbranch_execz .LBB45_56
; %bb.19:
	s_abs_i32 s0, s22
	v_cvt_f32_u32_e32 v1, s0
	v_mov_b32_e32 v41, 0
	s_mov_b32 s4, 0
	s_cmp_ge_i32 s24, s25
	v_rcp_iflag_f32_e32 v1, v1
	v_mov_b32_e32 v40, v41
	v_mov_b32_e32 v29, v41
	;; [unrolled: 1-line block ×3, first 2 shown]
	v_mul_f32_e32 v1, 0x4f7ffffe, v1
	v_cvt_u32_f32_e32 v1, v1
	v_mov_b32_e32 v39, v41
	v_mov_b32_e32 v38, v41
	;; [unrolled: 1-line block ×3, first 2 shown]
	v_readfirstlane_b32 s1, v1
	v_mov_b32_e32 v24, v41
	v_mov_b32_e32 v33, v41
	;; [unrolled: 1-line block ×25, first 2 shown]
	s_waitcnt lgkmcnt(0)
	s_barrier
	s_cbranch_scc1 .LBB45_24
; %bb.20:
	buffer_load_dword v2, off, s[28:31], 0 offset:164 ; 4-byte Folded Reload
	buffer_load_dword v3, off, s[28:31], 0 offset:168 ; 4-byte Folded Reload
	s_sub_i32 s6, 0, s0
	s_mul_i32 s6, s6, s1
	s_mul_hi_u32 s6, s1, s6
	s_abs_i32 s5, s21
	s_add_i32 s1, s1, s6
	s_ashr_i32 s2, s21, 31
	s_ashr_i32 s3, s22, 31
	s_mul_hi_u32 s1, s5, s1
	s_xor_b32 s2, s2, s3
	s_mul_i32 s3, s1, s0
	s_sub_i32 s3, s5, s3
	s_add_i32 s5, s1, 1
	s_sub_i32 s6, s3, s0
	s_cmp_ge_u32 s3, s0
	s_cselect_b32 s1, s5, s1
	s_cselect_b32 s3, s6, s3
	s_add_i32 s5, s1, 1
	s_cmp_ge_u32 s3, s0
	s_cselect_b32 s0, s5, s1
	s_xor_b32 s0, s0, s2
	s_sub_i32 s5, s0, s2
	v_cvt_f32_u32_e32 v1, s5
	s_bitcmp1_b32 s23, 0
	s_cselect_b64 s[0:1], -1, 0
	s_sub_i32 s2, 0, s5
	v_rcp_iflag_f32_e32 v1, v1
	s_xor_b64 s[0:1], s[0:1], -1
	v_lshlrev_b32_e32 v7, 4, v0
	v_and_b32_e32 v10, 16, v7
	v_mul_f32_e32 v1, 0x4f7ffffe, v1
	v_cvt_u32_f32_e32 v1, v1
	s_movk_i32 s9, 0x2c00
	v_readfirstlane_b32 s3, v1
	s_mul_i32 s2, s2, s3
	s_mul_hi_u32 s2, s3, s2
	s_add_i32 s3, s3, s2
	s_mul_hi_u32 s2, s24, s3
	s_mul_i32 s3, s2, s5
	s_sub_i32 s3, s24, s3
	s_add_i32 s6, s2, 1
	s_sub_i32 s8, s3, s5
	s_cmp_ge_u32 s3, s5
	s_cselect_b32 s2, s6, s2
	s_cselect_b32 s3, s8, s3
	s_add_i32 s6, s2, 1
	s_cmp_ge_u32 s3, s5
	s_cselect_b32 s6, s6, s2
	s_mul_i32 s2, s6, s20
	s_ashr_i32 s3, s2, 31
	s_lshr_b32 s3, s3, 29
	v_mov_b32_e32 v1, s17
	s_mov_b32 s8, 0x5040100
	s_waitcnt vmcnt(1)
	v_mov_b32_e32 v8, v2
	v_ashrrev_i32_e32 v9, 31, v8
	v_lshrrev_b32_e32 v2, 29, v9
	v_add_u32_e32 v2, v8, v2
	v_ashrrev_i32_e32 v4, 3, v2
	v_add_u32_e32 v2, s2, v8
	s_add_i32 s2, s2, s3
	s_waitcnt vmcnt(0)
	v_ashrrev_i32_e32 v3, 31, v2
	s_ashr_i32 s2, s2, 3
	v_lshlrev_b64 v[2:3], 1, v[2:3]
	buffer_store_dword v4, off, s[28:31], 0 offset:172 ; 4-byte Folded Spill
	v_add_u32_e32 v4, s2, v4
	v_add_co_u32_e32 v2, vcc, s16, v2
	v_ashrrev_i32_e32 v5, 31, v4
	v_addc_co_u32_e32 v3, vcc, v1, v3, vcc
	v_lshlrev_b64 v[4:5], 2, v[4:5]
	v_mov_b32_e32 v1, s15
	v_add_co_u32_e32 v4, vcc, s14, v4
	v_addc_co_u32_e32 v5, vcc, v1, v5, vcc
	global_load_dword v6, v[4:5], off
	v_mov_b32_e32 v0, v8
	global_load_dwordx2 v[2:3], v[2:3], off
	s_nop 0
	buffer_store_dword v0, off, s[28:31], 0 offset:164 ; 4-byte Folded Spill
	s_nop 0
	buffer_store_dword v1, off, s[28:31], 0 offset:168 ; 4-byte Folded Spill
	v_lshlrev_b64 v[0:1], 2, v[8:9]
	v_cndmask_b32_e64 v9, 0, 1, s[0:1]
	s_lshr_b32 s0, s24, 3
	s_mul_i32 s0, s0, s20
	s_ashr_i32 s1, s0, 31
	s_lshl_b64 s[0:1], s[0:1], 2
	s_add_u32 s11, s12, s0
	s_addc_u32 s0, s13, s1
	v_mov_b32_e32 v8, s0
	v_add_co_u32_e32 v30, vcc, s11, v0
	v_addc_co_u32_e32 v31, vcc, v8, v1, vcc
	buffer_store_dword v9, off, s[28:31], 0 offset:180 ; 4-byte Folded Spill
	v_mov_b32_e32 v4, 0
	s_ashr_i32 s21, s20, 31
	v_mov_b32_e32 v5, v4
	v_mov_b32_e32 v16, v4
	;; [unrolled: 1-line block ×10, first 2 shown]
	s_add_i32 s10, s5, s24
	s_lshl_b64 s[0:1], s[20:21], 4
	s_lshl_b64 s[2:3], s[20:21], 2
	v_mov_b32_e32 v23, v4
	v_mov_b32_e32 v26, v4
	;; [unrolled: 1-line block ×21, first 2 shown]
	buffer_store_dword v10, off, s[28:31], 0 offset:176 ; 4-byte Folded Spill
	s_waitcnt vmcnt(5)
	v_lshrrev_b32_e32 v0, v7, v6
	v_bfe_u32 v1, v6, v10, 4
	s_waitcnt vmcnt(4)
	v_cvt_f32_f16_e32 v34, v2
	v_cvt_f32_f16_sdwa v35, v2 dst_sel:DWORD dst_unused:UNUSED_PAD src0_sel:WORD_1
	v_cvt_f32_f16_e32 v36, v3
	v_cvt_f32_f16_sdwa v37, v3 dst_sel:DWORD dst_unused:UNUSED_PAD src0_sel:WORD_1
	v_bfe_u32 v2, v0, 12, 4
	v_bfe_u32 v3, v0, 8, 4
	;; [unrolled: 1-line block ×3, first 2 shown]
	v_add_u32_e32 v1, v1, v9
	v_add_u32_e32 v2, v2, v9
	;; [unrolled: 1-line block ×4, first 2 shown]
	v_cvt_f32_ubyte0_e32 v6, v1
	v_or_b32_e32 v1, 0xffffe400, v1
	v_cvt_f32_ubyte0_e32 v7, v2
	v_or_b32_e32 v2, 0xffffe400, v2
	;; [unrolled: 2-line block ×3, first 2 shown]
	v_cvt_f32_ubyte0_e32 v9, v0
	v_cvt_f16_f32_e32 v6, v6
	v_perm_b32 v50, v1, v1, s8
	v_cvt_f16_f32_e32 v1, v7
	v_perm_b32 v53, v2, v2, s8
	;; [unrolled: 2-line block ×3, first 2 shown]
	v_cvt_f16_f32_e32 v3, v9
	v_or_b32_e32 v0, 0xffffe400, v0
	v_perm_b32 v52, v0, v0, s8
	v_sub_f16_e32 v0, 0xd400, v6
	v_sub_f16_e32 v1, 0xd400, v1
	;; [unrolled: 1-line block ×4, first 2 shown]
	v_pack_b32_f16 v54, v0, v0
	v_pack_b32_f16 v55, v1, v1
	v_pack_b32_f16 v56, v2, v2
	v_pack_b32_f16 v57, v3, v3
	s_branch .LBB45_22
.LBB45_21:                              ;   in Loop: Header=BB45_22 Depth=1
	global_load_dwordx4 v[0:3], v[30:31], off
	v_mov_b32_e32 v74, s4
	ds_read2_b32 v[6:7], v74 offset1:1
	ds_read2_b32 v[8:9], v74 offset0:2 offset1:3
	ds_read2_b32 v[10:11], v74 offset0:64 offset1:65
	;; [unrolled: 1-line block ×3, first 2 shown]
	s_add_i32 s11, s4, 0x400
	v_mov_b32_e32 v109, s3
	s_add_i32 s24, s24, 32
	ds_read2_b32 v[120:121], v74 offset0:10 offset1:11
	s_waitcnt vmcnt(0)
	v_and_b32_e32 v14, 0xf000f, v0
	v_and_b32_e32 v15, 0xf000f0, v0
	v_lshrrev_b32_e32 v0, 8, v0
	v_and_b32_e32 v16, 0xf000f, v1
	v_and_b32_e32 v17, 0xf000f0, v1
	v_lshrrev_b32_e32 v1, 8, v1
	v_or_b32_e32 v14, 0x64006400, v14
	v_and_b32_e32 v44, 0xf000f, v0
	v_and_b32_e32 v0, 0xf000f0, v0
	v_or_b32_e32 v16, 0x64006400, v16
	v_and_b32_e32 v45, 0xf000f, v1
	v_and_b32_e32 v1, 0xf000f0, v1
	;; [unrolled: 1-line block ×4, first 2 shown]
	v_lshrrev_b32_e32 v2, 8, v2
	v_and_b32_e32 v20, 0xf000f, v3
	v_and_b32_e32 v21, 0xf000f0, v3
	v_lshrrev_b32_e32 v3, 8, v3
	v_or_b32_e32 v15, 0x64006400, v15
	v_or_b32_e32 v17, 0x64006400, v17
	v_or_b32_e32 v0, 0x64006400, v0
	v_pk_add_f16 v14, v50, v14
	v_or_b32_e32 v1, 0x64006400, v1
	v_pk_add_f16 v16, v52, v16
	v_or_b32_e32 v18, 0x64006400, v18
	v_and_b32_e32 v46, 0xf000f, v2
	v_and_b32_e32 v2, 0xf000f0, v2
	v_or_b32_e32 v20, 0x64006400, v20
	v_and_b32_e32 v47, 0xf000f, v3
	v_and_b32_e32 v3, 0xf000f0, v3
	v_or_b32_e32 v44, 0x64006400, v44
	v_pk_fma_f16 v15, v15, s9, v54 op_sel_hi:[1,0,1]
	v_or_b32_e32 v45, 0x64006400, v45
	v_pk_fma_f16 v17, v17, s9, v57 op_sel_hi:[1,0,1]
	v_pk_fma_f16 v58, v0, s9, v54 op_sel_hi:[1,0,1]
	;; [unrolled: 1-line block ×3, first 2 shown]
	s_waitcnt lgkmcnt(4)
	v_pk_fma_f16 v0, v14, v6, 0
	v_pk_fma_f16 v1, v16, v6, 0
	v_or_b32_e32 v19, 0x64006400, v19
	v_or_b32_e32 v21, 0x64006400, v21
	;; [unrolled: 1-line block ×3, first 2 shown]
	v_pk_add_f16 v18, v51, v18
	v_or_b32_e32 v3, 0x64006400, v3
	v_pk_add_f16 v20, v53, v20
	v_pk_add_f16 v49, v50, v44
	;; [unrolled: 1-line block ×3, first 2 shown]
	v_pk_fma_f16 v0, v15, v7, v0
	v_pk_fma_f16 v1, v17, v7, v1
	v_or_b32_e32 v46, 0x64006400, v46
	v_pk_fma_f16 v19, v19, s9, v56 op_sel_hi:[1,0,1]
	v_or_b32_e32 v47, 0x64006400, v47
	v_pk_fma_f16 v48, v21, s9, v55 op_sel_hi:[1,0,1]
	v_pk_fma_f16 v61, v2, s9, v56 op_sel_hi:[1,0,1]
	;; [unrolled: 1-line block ×3, first 2 shown]
	v_pk_fma_f16 v2, v18, v6, 0
	v_pk_fma_f16 v3, v20, v6, 0
	s_waitcnt lgkmcnt(3)
	v_pk_fma_f16 v0, v49, v8, v0
	v_pk_fma_f16 v1, v59, v8, v1
	v_pk_add_f16 v46, v51, v46
	v_pk_add_f16 v47, v53, v47
	s_waitcnt lgkmcnt(2)
	v_pk_fma_f16 v6, v14, v10, 0
	v_pk_fma_f16 v21, v16, v10, 0
	;; [unrolled: 1-line block ×7, first 2 shown]
	ds_read2_b32 v[0:1], v74 offset0:128 offset1:129
	v_pk_fma_f16 v6, v15, v11, v6
	v_pk_fma_f16 v7, v17, v11, v21
	;; [unrolled: 1-line block ×6, first 2 shown]
	s_waitcnt lgkmcnt(2)
	v_pk_fma_f16 v6, v49, v12, v6
	v_pk_fma_f16 v8, v46, v12, v21
	;; [unrolled: 1-line block ×4, first 2 shown]
	ds_read2_b32 v[2:3], v74 offset0:130 offset1:131
	v_pk_fma_f16 v77, v58, v13, v6
	v_pk_fma_f16 v6, v48, v11, v10
	;; [unrolled: 1-line block ×4, first 2 shown]
	s_waitcnt lgkmcnt(1)
	v_pk_fma_f16 v6, v14, v0, 0
	v_pk_fma_f16 v6, v15, v1, v6
	s_waitcnt lgkmcnt(0)
	v_pk_fma_f16 v6, v49, v2, v6
	v_pk_fma_f16 v6, v58, v3, v6
	buffer_store_dword v6, off, s[28:31], 0 offset:160 ; 4-byte Folded Spill
	v_pk_fma_f16 v6, v16, v0, 0
	v_pk_fma_f16 v6, v17, v1, v6
	;; [unrolled: 1-line block ×10, first 2 shown]
	buffer_store_dword v6, off, s[28:31], 0 offset:152 ; 4-byte Folded Spill
	ds_read2_b32 v[6:7], v74 offset0:192 offset1:193
	v_pk_fma_f16 v0, v20, v0, 0
	v_pk_fma_f16 v79, v61, v13, v8
	;; [unrolled: 1-line block ×3, first 2 shown]
	ds_read2_b32 v[0:1], v74 offset0:194 offset1:195
	v_pk_fma_f16 v2, v47, v2, v8
	v_pk_fma_f16 v2, v62, v3, v2
	buffer_store_dword v2, off, s[28:31], 0 offset:156 ; 4-byte Folded Spill
	s_waitcnt lgkmcnt(1)
	v_pk_fma_f16 v2, v14, v6, 0
	v_pk_fma_f16 v2, v15, v7, v2
	s_waitcnt lgkmcnt(0)
	v_pk_fma_f16 v2, v49, v0, v2
	v_pk_fma_f16 v2, v58, v1, v2
	buffer_store_dword v2, off, s[28:31], 0 offset:144 ; 4-byte Folded Spill
	v_pk_fma_f16 v2, v16, v6, 0
	v_pk_fma_f16 v2, v17, v7, v2
	;; [unrolled: 1-line block ×4, first 2 shown]
	buffer_store_dword v2, off, s[28:31], 0 offset:148 ; 4-byte Folded Spill
	v_pk_fma_f16 v2, v18, v6, 0
	v_pk_fma_f16 v2, v19, v7, v2
	;; [unrolled: 1-line block ×4, first 2 shown]
	buffer_store_dword v2, off, s[28:31], 0 offset:128 ; 4-byte Folded Spill
	v_pk_fma_f16 v2, v20, v6, 0
	v_mov_b32_e32 v3, s11
	v_pk_fma_f16 v2, v48, v7, v2
	ds_read2_b32 v[6:7], v3 offset1:1
	s_add_i32 s11, s4, 0x408
	v_mov_b32_e32 v3, s11
	ds_read2_b32 v[8:9], v3 offset1:1
	v_pk_fma_f16 v0, v47, v0, v2
	v_pk_fma_f16 v0, v62, v1, v0
	buffer_store_dword v0, off, s[28:31], 0 offset:132 ; 4-byte Folded Spill
	s_waitcnt lgkmcnt(1)
	v_pk_fma_f16 v0, v14, v6, 0
	v_add_co_u32_e32 v44, vcc, s2, v30
	v_pk_fma_f16 v0, v15, v7, v0
	v_addc_co_u32_e32 v45, vcc, v31, v109, vcc
	s_waitcnt lgkmcnt(0)
	v_pk_fma_f16 v10, v49, v8, v0
	global_load_dwordx4 v[0:3], v[44:45], off
	v_pk_fma_f16 v10, v58, v9, v10
	buffer_store_dword v10, off, s[28:31], 0 offset:120 ; 4-byte Folded Spill
	v_pk_fma_f16 v10, v16, v6, 0
	v_pk_fma_f16 v10, v17, v7, v10
	v_pk_fma_f16 v10, v59, v8, v10
	v_pk_fma_f16 v10, v60, v9, v10
	buffer_store_dword v10, off, s[28:31], 0 offset:124 ; 4-byte Folded Spill
	v_pk_fma_f16 v10, v18, v6, 0
	v_pk_fma_f16 v10, v19, v7, v10
	v_pk_fma_f16 v6, v20, v6, 0
	s_add_i32 s11, s4, 0x500
	v_pk_fma_f16 v10, v46, v8, v10
	v_pk_fma_f16 v12, v48, v7, v6
	v_mov_b32_e32 v6, s11
	v_pk_fma_f16 v10, v61, v9, v10
	ds_read2_b32 v[6:7], v6 offset1:1
	s_add_i32 s11, s4, 0x508
	buffer_store_dword v10, off, s[28:31], 0 offset:112 ; 4-byte Folded Spill
	v_mov_b32_e32 v10, s11
	ds_read2_b32 v[10:11], v10 offset1:1
	v_pk_fma_f16 v8, v47, v8, v12
	v_pk_fma_f16 v8, v62, v9, v8
	buffer_store_dword v8, off, s[28:31], 0 offset:116 ; 4-byte Folded Spill
	s_waitcnt lgkmcnt(1)
	v_pk_fma_f16 v8, v14, v6, 0
	v_pk_fma_f16 v8, v15, v7, v8
	s_waitcnt lgkmcnt(0)
	v_pk_fma_f16 v8, v49, v10, v8
	v_pk_fma_f16 v8, v58, v11, v8
	buffer_store_dword v8, off, s[28:31], 0 offset:104 ; 4-byte Folded Spill
	v_pk_fma_f16 v8, v16, v6, 0
	v_pk_fma_f16 v8, v17, v7, v8
	v_pk_fma_f16 v8, v59, v10, v8
	v_pk_fma_f16 v8, v60, v11, v8
	buffer_store_dword v8, off, s[28:31], 0 offset:108 ; 4-byte Folded Spill
	v_pk_fma_f16 v8, v18, v6, 0
	v_pk_fma_f16 v8, v19, v7, v8
	v_pk_fma_f16 v6, v20, v6, 0
	s_add_i32 s11, s4, 0x600
	v_pk_fma_f16 v8, v46, v10, v8
	v_pk_fma_f16 v12, v48, v7, v6
	v_mov_b32_e32 v6, s11
	v_pk_fma_f16 v8, v61, v11, v8
	ds_read2_b32 v[6:7], v6 offset1:1
	s_add_i32 s11, s4, 0x608
	buffer_store_dword v8, off, s[28:31], 0 offset:96 ; 4-byte Folded Spill
	v_mov_b32_e32 v8, s11
	ds_read2_b32 v[8:9], v8 offset1:1
	v_pk_fma_f16 v10, v47, v10, v12
	v_pk_fma_f16 v10, v62, v11, v10
	buffer_store_dword v10, off, s[28:31], 0 offset:100 ; 4-byte Folded Spill
	s_waitcnt lgkmcnt(1)
	v_pk_fma_f16 v10, v14, v6, 0
	v_pk_fma_f16 v10, v15, v7, v10
	s_waitcnt lgkmcnt(0)
	v_pk_fma_f16 v10, v49, v8, v10
	;; [unrolled: 28-line block ×3, first 2 shown]
	v_pk_fma_f16 v8, v58, v11, v8
	buffer_store_dword v8, off, s[28:31], 0 offset:72 ; 4-byte Folded Spill
	v_pk_fma_f16 v8, v16, v6, 0
	v_pk_fma_f16 v8, v17, v7, v8
	;; [unrolled: 1-line block ×4, first 2 shown]
	buffer_store_dword v8, off, s[28:31], 0 offset:76 ; 4-byte Folded Spill
	v_pk_fma_f16 v8, v18, v6, 0
	v_pk_fma_f16 v8, v19, v7, v8
	;; [unrolled: 1-line block ×5, first 2 shown]
	buffer_store_dword v8, off, s[28:31], 0 offset:64 ; 4-byte Folded Spill
	v_pk_fma_f16 v6, v48, v7, v6
	s_waitcnt vmcnt(15)
	v_and_b32_e32 v8, 0xf000f0, v1
	v_pk_fma_f16 v6, v47, v10, v6
	v_or_b32_e32 v8, 0x64006400, v8
	v_pk_fma_f16 v6, v62, v11, v6
	v_pk_fma_f16 v14, v8, s9, v57 op_sel_hi:[1,0,1]
	v_and_b32_e32 v8, 0xf000f0, v2
	buffer_store_dword v6, off, s[28:31], 0 offset:68 ; 4-byte Folded Spill
	v_and_b32_e32 v6, 0xf000f, v0
	v_and_b32_e32 v7, 0xf000f0, v0
	v_or_b32_e32 v8, 0x64006400, v8
	v_or_b32_e32 v6, 0x64006400, v6
	;; [unrolled: 1-line block ×3, first 2 shown]
	v_pk_fma_f16 v58, v8, s9, v56 op_sel_hi:[1,0,1]
	ds_read2_b32 v[8:9], v74 offset0:4 offset1:5
	ds_read2_b32 v[10:11], v74 offset0:196 offset1:197
	v_lshrrev_b32_e32 v15, 8, v0
	v_pk_add_f16 v0, v50, v6
	v_pk_fma_f16 v6, v7, s9, v54 op_sel_hi:[1,0,1]
	v_and_b32_e32 v7, 0xf000f, v1
	v_or_b32_e32 v7, 0x64006400, v7
	v_lshrrev_b32_e32 v48, 8, v1
	v_pk_add_f16 v1, v52, v7
	v_and_b32_e32 v7, 0xf000f, v2
	v_lshrrev_b32_e32 v62, 8, v2
	v_and_b32_e32 v2, 0xf000f, v3
	v_or_b32_e32 v2, 0x64006400, v2
	v_or_b32_e32 v7, 0x64006400, v7
	v_pk_add_f16 v13, v53, v2
	s_waitcnt lgkmcnt(1)
	v_pk_fma_f16 v2, v0, v8, 0
	v_pk_add_f16 v49, v51, v7
	v_and_b32_e32 v7, 0xf000f0, v3
	v_pk_fma_f16 v84, v6, v9, v2
	v_pk_fma_f16 v2, v1, v8, 0
	v_or_b32_e32 v7, 0x64006400, v7
	v_lshrrev_b32_e32 v12, 8, v3
	v_pk_fma_f16 v86, v14, v9, v2
	ds_read2_b32 v[2:3], v74 offset0:68 offset1:69
	v_pk_fma_f16 v16, v7, s9, v55 op_sel_hi:[1,0,1]
	v_pk_fma_f16 v7, v49, v8, 0
	v_pk_fma_f16 v88, v58, v9, v7
	;; [unrolled: 1-line block ×4, first 2 shown]
	ds_read2_b32 v[8:9], v74 offset0:132 offset1:133
	s_waitcnt lgkmcnt(1)
	v_pk_fma_f16 v7, v0, v2, 0
	v_pk_fma_f16 v76, v6, v3, v7
	;; [unrolled: 1-line block ×7, first 2 shown]
	s_waitcnt lgkmcnt(0)
	v_pk_fma_f16 v7, v49, v8, 0
	v_pk_fma_f16 v82, v16, v3, v2
	v_pk_fma_f16 v2, v0, v8, 0
	v_pk_fma_f16 v3, v1, v8, 0
	v_pk_fma_f16 v70, v58, v9, v7
	v_pk_fma_f16 v7, v13, v8, 0
	v_pk_fma_f16 v8, v1, v10, 0
	s_add_i32 s11, s4, 0x410
	v_pk_fma_f16 v46, v14, v11, v8
	v_mov_b32_e32 v8, s11
	v_pk_fma_f16 v2, v6, v9, v2
	v_pk_fma_f16 v3, v14, v9, v3
	;; [unrolled: 1-line block ×3, first 2 shown]
	ds_read2_b32 v[8:9], v8 offset1:1
	v_pk_fma_f16 v7, v0, v10, 0
	v_pk_fma_f16 v17, v49, v10, 0
	;; [unrolled: 1-line block ×4, first 2 shown]
	s_waitcnt lgkmcnt(0)
	v_pk_fma_f16 v10, v0, v8, 0
	v_pk_fma_f16 v83, v6, v9, v10
	;; [unrolled: 1-line block ×6, first 2 shown]
	s_add_i32 s11, s4, 0x510
	v_pk_fma_f16 v92, v16, v9, v8
	v_mov_b32_e32 v8, s11
	v_pk_fma_f16 v91, v58, v9, v10
	ds_read2_b32 v[8:9], v8 offset1:1
	s_add_i32 s11, s4, 0x610
	v_pk_fma_f16 v7, v6, v11, v7
	v_pk_fma_f16 v73, v58, v11, v17
	s_waitcnt lgkmcnt(0)
	v_pk_fma_f16 v10, v0, v8, 0
	v_pk_fma_f16 v59, v6, v9, v10
	;; [unrolled: 1-line block ×7, first 2 shown]
	v_mov_b32_e32 v8, s11
	v_pk_fma_f16 v75, v58, v9, v10
	ds_read2_b32 v[8:9], v8 offset1:1
	s_add_i32 s11, s4, 0x710
	s_waitcnt lgkmcnt(0)
	v_pk_fma_f16 v10, v0, v8, 0
	v_pk_fma_f16 v65, v6, v9, v10
	;; [unrolled: 1-line block ×7, first 2 shown]
	v_mov_b32_e32 v8, s11
	v_pk_fma_f16 v68, v58, v9, v10
	ds_read2_b32 v[8:9], v8 offset1:1
	s_add_i32 s11, s4, 0x418
	s_waitcnt lgkmcnt(0)
	v_pk_fma_f16 v0, v0, v8, 0
	v_pk_fma_f16 v0, v6, v9, v0
	;; [unrolled: 1-line block ×8, first 2 shown]
	v_and_b32_e32 v8, 0xf000f, v15
	v_and_b32_e32 v9, 0xf000f0, v15
	v_or_b32_e32 v8, 0x64006400, v8
	v_or_b32_e32 v9, 0x64006400, v9
	v_pk_add_f16 v15, v50, v8
	v_pk_fma_f16 v49, v9, s9, v54 op_sel_hi:[1,0,1]
	v_and_b32_e32 v8, 0xf000f, v48
	v_and_b32_e32 v9, 0xf000f0, v48
	v_or_b32_e32 v8, 0x64006400, v8
	v_or_b32_e32 v9, 0x64006400, v9
	v_pk_add_f16 v58, v52, v8
	v_pk_fma_f16 v60, v9, s9, v57 op_sel_hi:[1,0,1]
	;; [unrolled: 6-line block ×4, first 2 shown]
	ds_read2_b32 v[8:9], v74 offset0:6 offset1:7
	s_waitcnt lgkmcnt(0)
	v_pk_fma_f16 v10, v15, v8, v84
	v_pk_fma_f16 v48, v49, v9, v10
	v_pk_fma_f16 v10, v58, v8, v86
	v_pk_fma_f16 v112, v60, v9, v10
	v_pk_fma_f16 v10, v62, v8, v88
	v_pk_fma_f16 v8, v64, v8, v90
	v_pk_fma_f16 v88, v63, v9, v10
	v_pk_fma_f16 v90, v66, v9, v8
	ds_read2_b32 v[8:9], v74 offset0:70 offset1:71
	s_waitcnt lgkmcnt(0)
	v_pk_fma_f16 v10, v15, v8, v76
	v_pk_fma_f16 v84, v49, v9, v10
	v_pk_fma_f16 v10, v58, v8, v78
	v_pk_fma_f16 v86, v60, v9, v10
	v_pk_fma_f16 v10, v62, v8, v80
	v_pk_fma_f16 v8, v64, v8, v82
	v_pk_fma_f16 v76, v63, v9, v10
	v_pk_fma_f16 v78, v66, v9, v8
	;; [unrolled: 10-line block ×4, first 2 shown]
	v_mov_b32_e32 v7, s11
	ds_read2_b32 v[8:9], v7 offset1:1
	s_add_i32 s11, s4, 0x518
	s_waitcnt lgkmcnt(0)
	v_pk_fma_f16 v7, v15, v8, v83
	v_pk_fma_f16 v107, v49, v9, v7
	v_pk_fma_f16 v7, v58, v8, v89
	v_pk_fma_f16 v46, v60, v9, v7
	v_pk_fma_f16 v7, v62, v8, v91
	v_pk_fma_f16 v47, v63, v9, v7
	v_pk_fma_f16 v7, v64, v8, v92
	v_pk_fma_f16 v108, v66, v9, v7
	v_mov_b32_e32 v7, s11
	ds_read2_b32 v[8:9], v7 offset1:1
	s_add_i32 s11, s4, 0x618
	s_waitcnt lgkmcnt(0)
	v_pk_fma_f16 v7, v15, v8, v59
	v_pk_fma_f16 v73, v49, v9, v7
	v_pk_fma_f16 v7, v58, v8, v61
	v_pk_fma_f16 v95, v60, v9, v7
	v_pk_fma_f16 v7, v62, v8, v75
	v_pk_fma_f16 v75, v63, v9, v7
	v_pk_fma_f16 v7, v64, v8, v81
	v_pk_fma_f16 v93, v66, v9, v7
	v_mov_b32_e32 v7, s11
	ds_read2_b32 v[8:9], v7 offset1:1
	s_add_i32 s11, s4, 0x718
	s_waitcnt lgkmcnt(0)
	v_pk_fma_f16 v7, v15, v8, v65
	v_pk_fma_f16 v65, v49, v9, v7
	v_pk_fma_f16 v7, v58, v8, v67
	v_pk_fma_f16 v91, v60, v9, v7
	v_pk_fma_f16 v7, v62, v8, v68
	v_pk_fma_f16 v67, v63, v9, v7
	v_pk_fma_f16 v7, v64, v8, v69
	v_pk_fma_f16 v89, v66, v9, v7
	v_mov_b32_e32 v7, s11
	ds_read2_b32 v[8:9], v7 offset1:1
	s_add_i32 s11, s4, 0x420
	s_waitcnt lgkmcnt(0)
	v_pk_fma_f16 v0, v15, v8, v0
	v_pk_fma_f16 v69, v49, v9, v0
	;; [unrolled: 1-line block ×6, first 2 shown]
	buffer_store_dword v0, off, s[28:31], 0 offset:136 ; 4-byte Folded Spill
	v_pk_fma_f16 v0, v64, v8, v14
	v_pk_fma_f16 v0, v66, v9, v0
	buffer_store_dword v0, off, s[28:31], 0 offset:140 ; 4-byte Folded Spill
	v_add_co_u32_e32 v0, vcc, s2, v44
	v_addc_co_u32_e32 v1, vcc, v45, v109, vcc
	global_load_dwordx4 v[6:9], v[0:1], off
	v_add_co_u32_e32 v0, vcc, s2, v0
	v_addc_co_u32_e32 v1, vcc, v1, v109, vcc
	v_add_co_u32_e32 v30, vcc, s0, v30
	s_waitcnt vmcnt(0)
	v_and_b32_e32 v10, 0xf000f, v6
	v_and_b32_e32 v11, 0xf000f0, v6
	v_lshrrev_b32_e32 v12, 8, v6
	v_and_b32_e32 v6, 0xf000f, v7
	v_and_b32_e32 v13, 0xf000f0, v7
	v_lshrrev_b32_e32 v16, 8, v7
	;; [unrolled: 3-line block ×4, first 2 shown]
	v_or_b32_e32 v9, 0x64006400, v10
	v_or_b32_e32 v6, 0x64006400, v6
	v_pk_add_f16 v18, v50, v9
	v_or_b32_e32 v9, 0x64006400, v13
	v_pk_add_f16 v13, v52, v6
	v_or_b32_e32 v6, 0x64006400, v7
	v_pk_fma_f16 v92, v9, s9, v57 op_sel_hi:[1,0,1]
	v_pk_add_f16 v94, v51, v6
	v_or_b32_e32 v6, 0x64006400, v8
	ds_read2_b32 v[8:9], v74 offset0:8 offset1:9
	v_or_b32_e32 v7, 0x64006400, v14
	v_or_b32_e32 v10, 0x64006400, v11
	v_pk_fma_f16 v96, v7, s9, v56 op_sel_hi:[1,0,1]
	v_or_b32_e32 v7, 0x64006400, v15
	v_pk_add_f16 v98, v53, v6
	v_pk_fma_f16 v20, v10, s9, v54 op_sel_hi:[1,0,1]
	v_pk_fma_f16 v100, v7, s9, v55 op_sel_hi:[1,0,1]
	s_waitcnt lgkmcnt(0)
	v_pk_fma_f16 v6, v18, v8, 0
	v_pk_fma_f16 v7, v13, v8, 0
	v_pk_fma_f16 v10, v94, v8, 0
	v_pk_fma_f16 v8, v98, v8, 0
	v_pk_fma_f16 v6, v20, v9, v6
	v_pk_fma_f16 v7, v92, v9, v7
	v_pk_fma_f16 v14, v96, v9, v10
	v_pk_fma_f16 v15, v100, v9, v8
	ds_read2_b32 v[8:9], v74 offset0:72 offset1:73
	s_waitcnt lgkmcnt(0)
	v_pk_fma_f16 v10, v18, v8, 0
	v_pk_fma_f16 v44, v20, v9, v10
	v_pk_fma_f16 v10, v13, v8, 0
	v_pk_fma_f16 v45, v92, v9, v10
	v_pk_fma_f16 v10, v94, v8, 0
	v_pk_fma_f16 v8, v98, v8, 0
	v_pk_fma_f16 v49, v96, v9, v10
	v_pk_fma_f16 v58, v100, v9, v8
	ds_read2_b32 v[8:9], v74 offset0:136 offset1:137
	s_waitcnt lgkmcnt(0)
	v_pk_fma_f16 v10, v18, v8, 0
	v_pk_fma_f16 v59, v20, v9, v10
	v_pk_fma_f16 v10, v13, v8, 0
	v_pk_fma_f16 v60, v92, v9, v10
	v_pk_fma_f16 v10, v94, v8, 0
	v_pk_fma_f16 v8, v98, v8, 0
	v_pk_fma_f16 v61, v96, v9, v10
	v_pk_fma_f16 v62, v100, v9, v8
	ds_read2_b32 v[8:9], v74 offset0:200 offset1:201
	s_waitcnt lgkmcnt(0)
	v_pk_fma_f16 v10, v18, v8, 0
	v_pk_fma_f16 v63, v20, v9, v10
	v_pk_fma_f16 v10, v13, v8, 0
	v_pk_fma_f16 v64, v92, v9, v10
	v_pk_fma_f16 v10, v94, v8, 0
	v_pk_fma_f16 v8, v98, v8, 0
	v_pk_fma_f16 v68, v100, v9, v8
	v_mov_b32_e32 v8, s11
	v_pk_fma_f16 v66, v96, v9, v10
	ds_read2_b32 v[8:9], v8 offset1:1
	s_add_i32 s11, s4, 0x520
	s_waitcnt lgkmcnt(0)
	v_pk_fma_f16 v10, v18, v8, 0
	v_pk_fma_f16 v83, v20, v9, v10
	v_pk_fma_f16 v10, v13, v8, 0
	v_pk_fma_f16 v101, v92, v9, v10
	v_pk_fma_f16 v10, v94, v8, 0
	v_pk_fma_f16 v8, v98, v8, 0
	v_pk_fma_f16 v111, v100, v9, v8
	v_mov_b32_e32 v8, s11
	v_pk_fma_f16 v105, v96, v9, v10
	ds_read2_b32 v[8:9], v8 offset1:1
	s_add_i32 s11, s4, 0x620
	s_waitcnt lgkmcnt(0)
	v_pk_fma_f16 v10, v18, v8, 0
	v_pk_fma_f16 v114, v20, v9, v10
	v_pk_fma_f16 v10, v13, v8, 0
	v_pk_fma_f16 v115, v92, v9, v10
	v_pk_fma_f16 v10, v94, v8, 0
	v_pk_fma_f16 v8, v98, v8, 0
	v_pk_fma_f16 v117, v100, v9, v8
	v_mov_b32_e32 v8, s11
	v_pk_fma_f16 v116, v96, v9, v10
	ds_read2_b32 v[8:9], v8 offset1:1
	s_add_i32 s11, s4, 0x720
	s_waitcnt lgkmcnt(0)
	v_pk_fma_f16 v10, v18, v8, 0
	v_pk_fma_f16 v118, v20, v9, v10
	v_pk_fma_f16 v10, v13, v8, 0
	v_pk_fma_f16 v119, v92, v9, v10
	v_pk_fma_f16 v10, v94, v8, 0
	v_pk_fma_f16 v8, v98, v8, 0
	v_pk_fma_f16 v126, v100, v9, v8
	v_mov_b32_e32 v8, s11
	v_pk_fma_f16 v125, v96, v9, v10
	ds_read2_b32 v[10:11], v8 offset1:1
	s_add_i32 s11, s4, 0x428
	s_waitcnt lgkmcnt(0)
	v_pk_fma_f16 v8, v18, v10, 0
	v_pk_fma_f16 v127, v20, v11, v8
	v_pk_fma_f16 v8, v13, v10, 0
	v_pk_fma_f16 v9, v94, v10, 0
	v_pk_fma_f16 v10, v98, v10, 0
	v_pk_fma_f16 v8, v92, v11, v8
	v_pk_fma_f16 v9, v96, v11, v9
	v_pk_fma_f16 v10, v100, v11, v10
	v_and_b32_e32 v11, 0xf000f, v12
	v_or_b32_e32 v11, 0x64006400, v11
	v_and_b32_e32 v12, 0xf000f0, v12
	v_and_b32_e32 v13, 0xf000f, v16
	;; [unrolled: 1-line block ×4, first 2 shown]
	v_or_b32_e32 v12, 0x64006400, v12
	v_pk_add_f16 v11, v50, v11
	v_or_b32_e32 v13, 0x64006400, v13
	v_and_b32_e32 v16, 0xf000f0, v16
	v_or_b32_e32 v18, 0x64006400, v18
	v_or_b32_e32 v20, 0x64006400, v17
	v_pk_fma_f16 v12, v12, s9, v54 op_sel_hi:[1,0,1]
	v_or_b32_e32 v16, 0x64006400, v16
	v_pk_add_f16 v13, v52, v13
	v_pk_add_f16 v17, v51, v18
	v_pk_fma_f16 v18, v20, s9, v56 op_sel_hi:[1,0,1]
	v_and_b32_e32 v20, 0xf000f, v19
	v_pk_fma_f16 v6, v11, v120, v6
	v_pk_fma_f16 v16, v16, s9, v57 op_sel_hi:[1,0,1]
	v_or_b32_e32 v20, 0x64006400, v20
	v_and_b32_e32 v19, 0xf000f0, v19
	v_pk_fma_f16 v22, v12, v121, v6
	v_pk_fma_f16 v6, v13, v120, v7
	v_or_b32_e32 v92, 0x64006400, v19
	v_pk_add_f16 v19, v53, v20
	v_pk_fma_f16 v23, v16, v121, v6
	v_pk_fma_f16 v6, v17, v120, v14
	v_pk_fma_f16 v20, v92, s9, v55 op_sel_hi:[1,0,1]
	v_pk_fma_f16 v122, v18, v121, v6
	v_pk_fma_f16 v6, v19, v120, v15
	v_pk_fma_f16 v123, v20, v121, v6
	ds_read2_b32 v[6:7], v74 offset0:74 offset1:75
	s_waitcnt lgkmcnt(0)
	v_pk_fma_f16 v14, v11, v6, v44
	v_pk_fma_f16 v110, v12, v7, v14
	v_pk_fma_f16 v14, v13, v6, v45
	v_pk_fma_f16 v120, v16, v7, v14
	v_pk_fma_f16 v14, v17, v6, v49
	v_pk_fma_f16 v6, v19, v6, v58
	v_pk_fma_f16 v104, v18, v7, v14
	v_pk_fma_f16 v106, v20, v7, v6
	ds_read2_b32 v[6:7], v74 offset0:138 offset1:139
	s_waitcnt lgkmcnt(0)
	v_pk_fma_f16 v14, v11, v6, v59
	v_pk_fma_f16 v96, v12, v7, v14
	v_pk_fma_f16 v14, v13, v6, v60
	v_pk_fma_f16 v98, v16, v7, v14
	v_pk_fma_f16 v14, v17, v6, v61
	v_pk_fma_f16 v6, v19, v6, v62
	v_pk_fma_f16 v92, v18, v7, v14
	v_pk_fma_f16 v94, v20, v7, v6
	ds_read2_b32 v[6:7], v74 offset0:202 offset1:203
	s_waitcnt lgkmcnt(0)
	v_pk_fma_f16 v14, v11, v6, v63
	v_pk_fma_f16 v44, v12, v7, v14
	v_pk_fma_f16 v14, v13, v6, v64
	v_pk_fma_f16 v45, v16, v7, v14
	v_pk_fma_f16 v14, v17, v6, v66
	v_pk_fma_f16 v6, v19, v6, v68
	v_pk_fma_f16 v68, v20, v7, v6
	v_mov_b32_e32 v6, s11
	v_pk_fma_f16 v66, v18, v7, v14
	ds_read2_b32 v[14:15], v6 offset1:1
	s_add_i32 s11, s4, 0x528
	s_waitcnt lgkmcnt(0)
	v_pk_fma_f16 v7, v19, v14, v111
	v_pk_fma_f16 v6, v11, v14, v83
	;; [unrolled: 1-line block ×3, first 2 shown]
	v_mov_b32_e32 v7, s11
	v_pk_fma_f16 v62, v12, v15, v6
	v_pk_fma_f16 v6, v13, v14, v101
	ds_read2_b32 v[100:101], v7 offset1:1
	v_pk_fma_f16 v64, v16, v15, v6
	v_pk_fma_f16 v6, v17, v14, v105
	s_add_i32 s11, s4, 0x628
	v_pk_fma_f16 v6, v18, v15, v6
	s_waitcnt lgkmcnt(0)
	v_pk_fma_f16 v7, v11, v100, v114
	v_pk_fma_f16 v58, v12, v101, v7
	;; [unrolled: 1-line block ×7, first 2 shown]
	v_mov_b32_e32 v14, s11
	v_pk_fma_f16 v7, v18, v101, v7
	ds_read2_b32 v[100:101], v14 offset1:1
	s_add_i32 s11, s4, 0x728
	s_waitcnt lgkmcnt(0)
	v_pk_fma_f16 v14, v11, v100, v118
	v_pk_fma_f16 v59, v12, v101, v14
	;; [unrolled: 1-line block ×8, first 2 shown]
	v_mov_b32_e32 v14, s11
	ds_read2_b32 v[100:101], v14 offset1:1
	s_add_i32 s11, s4, 0x430
	s_waitcnt lgkmcnt(0)
	v_pk_fma_f16 v8, v13, v100, v8
	v_pk_fma_f16 v105, v16, v101, v8
	;; [unrolled: 1-line block ×8, first 2 shown]
	global_load_dwordx4 v[8:11], v[0:1], off
	v_cvt_f32_f16_e32 v1, v103
	v_cvt_f32_f16_e32 v0, v113
	s_waitcnt vmcnt(0)
	v_and_b32_e32 v12, 0xf000f, v8
	v_and_b32_e32 v13, 0xf000f0, v8
	v_lshrrev_b32_e32 v16, 8, v8
	v_and_b32_e32 v17, 0xf000f, v9
	v_and_b32_e32 v18, 0xf000f0, v9
	v_lshrrev_b32_e32 v19, 8, v9
	v_cvt_f32_f16_sdwa v9, v103 dst_sel:DWORD dst_unused:UNUSED_PAD src0_sel:WORD_1
	v_cvt_f32_f16_sdwa v8, v113 dst_sel:DWORD dst_unused:UNUSED_PAD src0_sel:WORD_1
	v_and_b32_e32 v126, 0xf000f, v10
	v_and_b32_e32 v127, 0xf000f0, v10
	v_lshrrev_b32_e32 v14, 8, v10
	v_and_b32_e32 v49, 0xf000f, v11
	v_and_b32_e32 v125, 0xf000f0, v11
	v_lshrrev_b32_e32 v101, 8, v11
	v_pk_add_f32 v[0:1], v[0:1], v[8:9]
	v_cvt_f32_f16_e32 v9, v112
	v_cvt_f32_f16_e32 v8, v48
	v_cvt_f32_f16_sdwa v11, v112 dst_sel:DWORD dst_unused:UNUSED_PAD src0_sel:WORD_1
	v_cvt_f32_f16_sdwa v10, v48 dst_sel:DWORD dst_unused:UNUSED_PAD src0_sel:WORD_1
	v_pk_fma_f32 v[0:1], v[0:1], v[34:35], v[40:41]
	v_pk_add_f32 v[8:9], v[8:9], v[10:11]
	v_pk_fma_f32 v[0:1], v[8:9], v[34:35], v[0:1]
	v_cvt_f32_f16_e32 v9, v23
	v_cvt_f32_f16_e32 v8, v22
	v_cvt_f32_f16_sdwa v11, v23 dst_sel:DWORD dst_unused:UNUSED_PAD src0_sel:WORD_1
	v_cvt_f32_f16_sdwa v10, v22 dst_sel:DWORD dst_unused:UNUSED_PAD src0_sel:WORD_1
	v_pk_add_f32 v[8:9], v[8:9], v[10:11]
	v_pk_fma_f32 v[0:1], v[8:9], v[34:35], v[0:1]
	v_or_b32_e32 v8, 0x64006400, v12
	v_or_b32_e32 v9, 0x64006400, v13
	v_pk_add_f16 v115, v50, v8
	v_pk_fma_f16 v116, v9, s9, v54 op_sel_hi:[1,0,1]
	v_or_b32_e32 v8, 0x64006400, v17
	v_or_b32_e32 v9, 0x64006400, v18
	v_pk_add_f16 v112, v52, v8
	v_pk_fma_f16 v113, v9, s9, v57 op_sel_hi:[1,0,1]
	ds_read2_b32 v[8:9], v74 offset0:12 offset1:13
	v_and_b32_e32 v10, 0xf000f, v16
	v_or_b32_e32 v10, 0x64006400, v10
	v_and_b32_e32 v11, 0xf000f0, v16
	v_or_b32_e32 v11, 0x64006400, v11
	v_pk_add_f16 v117, v50, v10
	v_and_b32_e32 v10, 0xf000f, v19
	v_pk_fma_f16 v118, v11, s9, v54 op_sel_hi:[1,0,1]
	v_or_b32_e32 v10, 0x64006400, v10
	v_and_b32_e32 v11, 0xf000f0, v19
	v_or_b32_e32 v11, 0x64006400, v11
	v_pk_add_f16 v114, v52, v10
	s_waitcnt lgkmcnt(0)
	v_pk_fma_f16 v10, v115, v8, 0
	v_pk_fma_f16 v109, v11, s9, v57 op_sel_hi:[1,0,1]
	v_pk_fma_f16 v12, v116, v9, v10
	ds_read2_b32 v[10:11], v74 offset0:14 offset1:15
	s_waitcnt lgkmcnt(0)
	v_pk_fma_f16 v12, v117, v10, v12
	v_pk_fma_f16 v16, v118, v11, v12
	;; [unrolled: 1-line block ×6, first 2 shown]
	v_cvt_f32_f16_e32 v13, v17
	v_cvt_f32_f16_e32 v12, v16
	v_cvt_f32_f16_sdwa v17, v17 dst_sel:DWORD dst_unused:UNUSED_PAD src0_sel:WORD_1
	v_cvt_f32_f16_sdwa v16, v16 dst_sel:DWORD dst_unused:UNUSED_PAD src0_sel:WORD_1
	v_pk_add_f32 v[12:13], v[12:13], v[16:17]
	v_pk_fma_f32 v[40:41], v[12:13], v[34:35], v[0:1]
	v_or_b32_e32 v0, 0x64006400, v126
	v_or_b32_e32 v1, 0x64006400, v127
	v_pk_add_f16 v127, v51, v0
	v_or_b32_e32 v0, 0x64006400, v49
	v_pk_fma_f16 v48, v1, s9, v56 op_sel_hi:[1,0,1]
	v_or_b32_e32 v1, 0x64006400, v125
	v_pk_add_f16 v125, v53, v0
	v_pk_fma_f16 v126, v1, s9, v55 op_sel_hi:[1,0,1]
	v_pk_fma_f16 v0, v127, v8, 0
	v_pk_fma_f16 v1, v125, v8, 0
	v_and_b32_e32 v8, 0xf000f, v14
	v_pk_fma_f16 v0, v48, v9, v0
	v_pk_fma_f16 v1, v126, v9, v1
	v_or_b32_e32 v8, 0x64006400, v8
	v_and_b32_e32 v9, 0xf000f0, v14
	v_or_b32_e32 v9, 0x64006400, v9
	v_pk_add_f16 v49, v51, v8
	v_and_b32_e32 v8, 0xf000f, v101
	v_pk_fma_f16 v14, v9, s9, v56 op_sel_hi:[1,0,1]
	v_or_b32_e32 v8, 0x64006400, v8
	v_and_b32_e32 v9, 0xf000f0, v101
	v_or_b32_e32 v9, 0x64006400, v9
	v_pk_add_f16 v103, v53, v8
	v_pk_fma_f16 v0, v49, v10, v0
	v_pk_fma_f16 v101, v9, s9, v55 op_sel_hi:[1,0,1]
	v_pk_fma_f16 v12, v14, v11, v0
	v_pk_fma_f16 v0, v103, v10, v1
	v_pk_fma_f16 v13, v101, v11, v0
	v_cvt_f32_f16_e32 v1, v21
	v_cvt_f32_f16_e32 v0, v71
	v_cvt_f32_f16_sdwa v9, v21 dst_sel:DWORD dst_unused:UNUSED_PAD src0_sel:WORD_1
	v_cvt_f32_f16_sdwa v8, v71 dst_sel:DWORD dst_unused:UNUSED_PAD src0_sel:WORD_1
	;; [unrolled: 1-line block ×4, first 2 shown]
	v_pk_add_f32 v[0:1], v[0:1], v[8:9]
	v_cvt_f32_f16_e32 v9, v90
	v_cvt_f32_f16_e32 v8, v88
	v_pk_fma_f32 v[0:1], v[0:1], v[36:37], v[28:29]
	v_pk_add_f32 v[8:9], v[8:9], v[10:11]
	v_pk_fma_f32 v[0:1], v[8:9], v[36:37], v[0:1]
	v_cvt_f32_f16_e32 v9, v123
	v_cvt_f32_f16_e32 v8, v122
	v_cvt_f32_f16_sdwa v11, v123 dst_sel:DWORD dst_unused:UNUSED_PAD src0_sel:WORD_1
	v_cvt_f32_f16_sdwa v10, v122 dst_sel:DWORD dst_unused:UNUSED_PAD src0_sel:WORD_1
	v_pk_add_f32 v[8:9], v[8:9], v[10:11]
	v_pk_fma_f32 v[0:1], v[8:9], v[36:37], v[0:1]
	v_cvt_f32_f16_e32 v9, v13
	v_cvt_f32_f16_e32 v8, v12
	v_cvt_f32_f16_sdwa v11, v13 dst_sel:DWORD dst_unused:UNUSED_PAD src0_sel:WORD_1
	v_cvt_f32_f16_sdwa v10, v12 dst_sel:DWORD dst_unused:UNUSED_PAD src0_sel:WORD_1
	;; [unrolled: 6-line block ×3, first 2 shown]
	v_cvt_f32_f16_sdwa v11, v86 dst_sel:DWORD dst_unused:UNUSED_PAD src0_sel:WORD_1
	v_cvt_f32_f16_sdwa v10, v84 dst_sel:DWORD dst_unused:UNUSED_PAD src0_sel:WORD_1
	v_pk_add_f32 v[0:1], v[0:1], v[8:9]
	v_cvt_f32_f16_e32 v9, v86
	v_cvt_f32_f16_e32 v8, v84
	v_pk_fma_f32 v[0:1], v[0:1], v[34:35], v[38:39]
	v_pk_add_f32 v[8:9], v[8:9], v[10:11]
	v_pk_fma_f32 v[0:1], v[8:9], v[34:35], v[0:1]
	v_cvt_f32_f16_e32 v9, v120
	v_cvt_f32_f16_e32 v8, v110
	v_cvt_f32_f16_sdwa v11, v120 dst_sel:DWORD dst_unused:UNUSED_PAD src0_sel:WORD_1
	v_cvt_f32_f16_sdwa v10, v110 dst_sel:DWORD dst_unused:UNUSED_PAD src0_sel:WORD_1
	v_pk_add_f32 v[8:9], v[8:9], v[10:11]
	v_pk_fma_f32 v[0:1], v[8:9], v[34:35], v[0:1]
	ds_read2_b32 v[8:9], v74 offset0:76 offset1:77
	s_waitcnt lgkmcnt(0)
	v_pk_fma_f16 v10, v115, v8, 0
	v_pk_fma_f16 v12, v116, v9, v10
	ds_read2_b32 v[10:11], v74 offset0:78 offset1:79
	s_waitcnt lgkmcnt(0)
	v_pk_fma_f16 v12, v117, v10, v12
	v_pk_fma_f16 v16, v118, v11, v12
	;; [unrolled: 1-line block ×6, first 2 shown]
	v_cvt_f32_f16_e32 v13, v17
	v_cvt_f32_f16_e32 v12, v16
	v_cvt_f32_f16_sdwa v17, v17 dst_sel:DWORD dst_unused:UNUSED_PAD src0_sel:WORD_1
	v_cvt_f32_f16_sdwa v16, v16 dst_sel:DWORD dst_unused:UNUSED_PAD src0_sel:WORD_1
	v_pk_add_f32 v[12:13], v[12:13], v[16:17]
	v_pk_fma_f32 v[38:39], v[12:13], v[34:35], v[0:1]
	v_pk_fma_f16 v0, v127, v8, 0
	v_pk_fma_f16 v0, v48, v9, v0
	;; [unrolled: 1-line block ×8, first 2 shown]
	v_cvt_f32_f16_e32 v1, v87
	v_cvt_f32_f16_e32 v0, v79
	v_cvt_f32_f16_sdwa v9, v87 dst_sel:DWORD dst_unused:UNUSED_PAD src0_sel:WORD_1
	v_cvt_f32_f16_sdwa v8, v79 dst_sel:DWORD dst_unused:UNUSED_PAD src0_sel:WORD_1
	;; [unrolled: 1-line block ×4, first 2 shown]
	v_pk_add_f32 v[0:1], v[0:1], v[8:9]
	v_cvt_f32_f16_e32 v9, v78
	v_cvt_f32_f16_e32 v8, v76
	v_pk_fma_f32 v[0:1], v[0:1], v[36:37], v[24:25]
	v_pk_add_f32 v[8:9], v[8:9], v[10:11]
	v_pk_fma_f32 v[0:1], v[8:9], v[36:37], v[0:1]
	v_cvt_f32_f16_e32 v9, v106
	v_cvt_f32_f16_e32 v8, v104
	v_cvt_f32_f16_sdwa v11, v106 dst_sel:DWORD dst_unused:UNUSED_PAD src0_sel:WORD_1
	v_cvt_f32_f16_sdwa v10, v104 dst_sel:DWORD dst_unused:UNUSED_PAD src0_sel:WORD_1
	v_pk_add_f32 v[8:9], v[8:9], v[10:11]
	v_pk_fma_f32 v[0:1], v[8:9], v[36:37], v[0:1]
	v_cvt_f32_f16_e32 v9, v13
	v_cvt_f32_f16_e32 v8, v12
	v_cvt_f32_f16_sdwa v11, v13 dst_sel:DWORD dst_unused:UNUSED_PAD src0_sel:WORD_1
	v_cvt_f32_f16_sdwa v10, v12 dst_sel:DWORD dst_unused:UNUSED_PAD src0_sel:WORD_1
	v_pk_add_f32 v[8:9], v[8:9], v[10:11]
	v_pk_fma_f32 v[24:25], v[8:9], v[36:37], v[0:1]
	buffer_load_dword v8, off, s[28:31], 0 offset:160 ; 4-byte Folded Reload
	v_cvt_f32_f16_e32 v1, v85
	v_cvt_f32_f16_sdwa v9, v85 dst_sel:DWORD dst_unused:UNUSED_PAD src0_sel:WORD_1
	v_cvt_f32_f16_sdwa v11, v82 dst_sel:DWORD dst_unused:UNUSED_PAD src0_sel:WORD_1
	;; [unrolled: 1-line block ×3, first 2 shown]
	s_waitcnt vmcnt(0)
	v_cvt_f32_f16_e32 v0, v8
	v_cvt_f32_f16_sdwa v8, v8 dst_sel:DWORD dst_unused:UNUSED_PAD src0_sel:WORD_1
	v_pk_add_f32 v[0:1], v[0:1], v[8:9]
	v_cvt_f32_f16_e32 v9, v82
	v_cvt_f32_f16_e32 v8, v80
	v_pk_fma_f32 v[0:1], v[0:1], v[34:35], v[32:33]
	v_pk_add_f32 v[8:9], v[8:9], v[10:11]
	v_pk_fma_f32 v[0:1], v[8:9], v[34:35], v[0:1]
	v_cvt_f32_f16_e32 v9, v98
	v_cvt_f32_f16_e32 v8, v96
	v_cvt_f32_f16_sdwa v11, v98 dst_sel:DWORD dst_unused:UNUSED_PAD src0_sel:WORD_1
	v_cvt_f32_f16_sdwa v10, v96 dst_sel:DWORD dst_unused:UNUSED_PAD src0_sel:WORD_1
	v_pk_add_f32 v[8:9], v[8:9], v[10:11]
	v_pk_fma_f32 v[0:1], v[8:9], v[34:35], v[0:1]
	ds_read2_b32 v[8:9], v74 offset0:140 offset1:141
	s_waitcnt lgkmcnt(0)
	v_pk_fma_f16 v10, v115, v8, 0
	v_pk_fma_f16 v12, v116, v9, v10
	ds_read2_b32 v[10:11], v74 offset0:142 offset1:143
	s_waitcnt lgkmcnt(0)
	v_pk_fma_f16 v12, v117, v10, v12
	v_pk_fma_f16 v16, v118, v11, v12
	;; [unrolled: 1-line block ×6, first 2 shown]
	v_cvt_f32_f16_e32 v13, v17
	v_cvt_f32_f16_e32 v12, v16
	v_cvt_f32_f16_sdwa v17, v17 dst_sel:DWORD dst_unused:UNUSED_PAD src0_sel:WORD_1
	v_cvt_f32_f16_sdwa v16, v16 dst_sel:DWORD dst_unused:UNUSED_PAD src0_sel:WORD_1
	v_pk_add_f32 v[12:13], v[12:13], v[16:17]
	v_pk_fma_f32 v[32:33], v[12:13], v[34:35], v[0:1]
	v_pk_fma_f16 v0, v127, v8, 0
	v_pk_fma_f16 v1, v125, v8, 0
	;; [unrolled: 1-line block ×4, first 2 shown]
	buffer_load_dword v9, off, s[28:31], 0 offset:156 ; 4-byte Folded Reload
	buffer_load_dword v8, off, s[28:31], 0 offset:152 ; 4-byte Folded Reload
	v_pk_fma_f16 v0, v49, v10, v0
	v_pk_fma_f16 v12, v14, v11, v0
	;; [unrolled: 1-line block ×4, first 2 shown]
	v_cvt_f32_f16_sdwa v13, v46 dst_sel:DWORD dst_unused:UNUSED_PAD src0_sel:WORD_1
	s_waitcnt vmcnt(1)
	v_cvt_f32_f16_e32 v1, v9
	s_waitcnt vmcnt(0)
	v_cvt_f32_f16_e32 v0, v8
	v_cvt_f32_f16_sdwa v9, v9 dst_sel:DWORD dst_unused:UNUSED_PAD src0_sel:WORD_1
	v_cvt_f32_f16_sdwa v8, v8 dst_sel:DWORD dst_unused:UNUSED_PAD src0_sel:WORD_1
	v_pk_add_f32 v[0:1], v[0:1], v[8:9]
	buffer_load_dword v8, off, s[28:31], 0 offset:56 ; 4-byte Folded Reload
	buffer_load_dword v9, off, s[28:31], 0 offset:60 ; 4-byte Folded Reload
	s_waitcnt vmcnt(0)
	v_pk_fma_f32 v[0:1], v[0:1], v[36:37], v[8:9]
	v_cvt_f32_f16_e32 v9, v3
	v_cvt_f32_f16_e32 v8, v2
	v_cvt_f32_f16_sdwa v3, v3 dst_sel:DWORD dst_unused:UNUSED_PAD src0_sel:WORD_1
	v_cvt_f32_f16_sdwa v2, v2 dst_sel:DWORD dst_unused:UNUSED_PAD src0_sel:WORD_1
	v_pk_add_f32 v[2:3], v[8:9], v[2:3]
	v_pk_fma_f32 v[0:1], v[2:3], v[36:37], v[0:1]
	v_cvt_f32_f16_e32 v3, v94
	v_cvt_f32_f16_e32 v2, v92
	v_cvt_f32_f16_sdwa v9, v94 dst_sel:DWORD dst_unused:UNUSED_PAD src0_sel:WORD_1
	v_cvt_f32_f16_sdwa v8, v92 dst_sel:DWORD dst_unused:UNUSED_PAD src0_sel:WORD_1
	v_pk_add_f32 v[2:3], v[2:3], v[8:9]
	;; [unrolled: 6-line block ×3, first 2 shown]
	v_pk_fma_f32 v[84:85], v[2:3], v[36:37], v[0:1]
	buffer_load_dword v3, off, s[28:31], 0 offset:148 ; 4-byte Folded Reload
	buffer_load_dword v2, off, s[28:31], 0 offset:144 ; 4-byte Folded Reload
	v_cvt_f32_f16_sdwa v9, v72 dst_sel:DWORD dst_unused:UNUSED_PAD src0_sel:WORD_1
	v_cvt_f32_f16_sdwa v8, v70 dst_sel:DWORD dst_unused:UNUSED_PAD src0_sel:WORD_1
	s_waitcnt vmcnt(1)
	v_cvt_f32_f16_e32 v1, v3
	s_waitcnt vmcnt(0)
	v_cvt_f32_f16_e32 v0, v2
	v_cvt_f32_f16_sdwa v3, v3 dst_sel:DWORD dst_unused:UNUSED_PAD src0_sel:WORD_1
	v_cvt_f32_f16_sdwa v2, v2 dst_sel:DWORD dst_unused:UNUSED_PAD src0_sel:WORD_1
	v_pk_add_f32 v[0:1], v[0:1], v[2:3]
	v_cvt_f32_f16_e32 v3, v72
	v_cvt_f32_f16_e32 v2, v70
	v_pk_fma_f32 v[0:1], v[0:1], v[34:35], v[42:43]
	v_pk_add_f32 v[2:3], v[2:3], v[8:9]
	v_pk_fma_f32 v[0:1], v[2:3], v[34:35], v[0:1]
	v_cvt_f32_f16_e32 v3, v45
	v_cvt_f32_f16_e32 v2, v44
	v_cvt_f32_f16_sdwa v9, v45 dst_sel:DWORD dst_unused:UNUSED_PAD src0_sel:WORD_1
	v_cvt_f32_f16_sdwa v8, v44 dst_sel:DWORD dst_unused:UNUSED_PAD src0_sel:WORD_1
	ds_read2_b32 v[44:45], v74 offset0:206 offset1:207
	v_pk_add_f32 v[2:3], v[2:3], v[8:9]
	v_pk_fma_f32 v[0:1], v[2:3], v[34:35], v[0:1]
	ds_read2_b32 v[2:3], v74 offset0:204 offset1:205
	s_waitcnt lgkmcnt(0)
	v_pk_fma_f16 v8, v115, v2, 0
	v_pk_fma_f16 v42, v116, v3, v8
	;; [unrolled: 1-line block ×8, first 2 shown]
	v_cvt_f32_f16_e32 v9, v11
	v_cvt_f32_f16_e32 v8, v10
	v_cvt_f32_f16_sdwa v11, v11 dst_sel:DWORD dst_unused:UNUSED_PAD src0_sel:WORD_1
	v_cvt_f32_f16_sdwa v10, v10 dst_sel:DWORD dst_unused:UNUSED_PAD src0_sel:WORD_1
	v_pk_add_f32 v[8:9], v[8:9], v[10:11]
	v_pk_fma_f32 v[42:43], v[8:9], v[34:35], v[0:1]
	v_pk_fma_f16 v0, v127, v2, 0
	v_pk_fma_f16 v1, v125, v2, 0
	;; [unrolled: 1-line block ×4, first 2 shown]
	buffer_load_dword v3, off, s[28:31], 0 offset:132 ; 4-byte Folded Reload
	buffer_load_dword v2, off, s[28:31], 0 offset:128 ; 4-byte Folded Reload
	v_pk_fma_f16 v0, v49, v44, v0
	v_pk_fma_f16 v10, v14, v45, v0
	;; [unrolled: 1-line block ×4, first 2 shown]
	v_cvt_f32_f16_sdwa v9, v99 dst_sel:DWORD dst_unused:UNUSED_PAD src0_sel:WORD_1
	v_cvt_f32_f16_sdwa v8, v102 dst_sel:DWORD dst_unused:UNUSED_PAD src0_sel:WORD_1
	s_waitcnt vmcnt(1)
	v_cvt_f32_f16_e32 v1, v3
	s_waitcnt vmcnt(0)
	v_cvt_f32_f16_e32 v0, v2
	v_cvt_f32_f16_sdwa v3, v3 dst_sel:DWORD dst_unused:UNUSED_PAD src0_sel:WORD_1
	v_cvt_f32_f16_sdwa v2, v2 dst_sel:DWORD dst_unused:UNUSED_PAD src0_sel:WORD_1
	v_pk_add_f32 v[0:1], v[0:1], v[2:3]
	buffer_load_dword v2, off, s[28:31], 0 offset:48 ; 4-byte Folded Reload
	buffer_load_dword v3, off, s[28:31], 0 offset:52 ; 4-byte Folded Reload
	s_waitcnt vmcnt(0)
	v_pk_fma_f32 v[0:1], v[0:1], v[36:37], v[2:3]
	v_cvt_f32_f16_e32 v3, v99
	v_cvt_f32_f16_e32 v2, v102
	v_pk_add_f32 v[2:3], v[2:3], v[8:9]
	v_pk_fma_f32 v[0:1], v[2:3], v[36:37], v[0:1]
	v_cvt_f32_f16_e32 v3, v68
	v_cvt_f32_f16_e32 v2, v66
	v_cvt_f32_f16_sdwa v9, v68 dst_sel:DWORD dst_unused:UNUSED_PAD src0_sel:WORD_1
	v_cvt_f32_f16_sdwa v8, v66 dst_sel:DWORD dst_unused:UNUSED_PAD src0_sel:WORD_1
	v_pk_add_f32 v[2:3], v[2:3], v[8:9]
	v_cvt_f32_f16_e32 v9, v11
	v_cvt_f32_f16_e32 v8, v10
	v_cvt_f32_f16_sdwa v11, v11 dst_sel:DWORD dst_unused:UNUSED_PAD src0_sel:WORD_1
	v_cvt_f32_f16_sdwa v10, v10 dst_sel:DWORD dst_unused:UNUSED_PAD src0_sel:WORD_1
	v_pk_fma_f32 v[0:1], v[2:3], v[36:37], v[0:1]
	v_pk_add_f32 v[2:3], v[8:9], v[10:11]
	buffer_load_dword v11, off, s[28:31], 0 offset:124 ; 4-byte Folded Reload
	buffer_load_dword v10, off, s[28:31], 0 offset:120 ; 4-byte Folded Reload
	v_pk_fma_f32 v[78:79], v[2:3], v[36:37], v[0:1]
	v_mov_b32_e32 v0, s11
	s_add_i32 s11, s4, 0x438
	v_mov_b32_e32 v2, s11
	ds_read2_b32 v[0:1], v0 offset1:1
	ds_read2_b32 v[2:3], v2 offset1:1
	s_add_i32 s11, s4, 0x530
	s_waitcnt lgkmcnt(1)
	v_pk_fma_f16 v12, v115, v0, 0
	v_pk_fma_f16 v12, v116, v1, v12
	s_waitcnt lgkmcnt(0)
	v_pk_fma_f16 v12, v117, v2, v12
	v_pk_fma_f16 v18, v118, v3, v12
	v_cvt_f32_f16_sdwa v12, v107 dst_sel:DWORD dst_unused:UNUSED_PAD src0_sel:WORD_1
	v_pk_fma_f16 v16, v112, v0, 0
	v_pk_fma_f16 v16, v113, v1, v16
	;; [unrolled: 1-line block ×4, first 2 shown]
	v_cvt_f32_f16_e32 v17, v19
	v_cvt_f32_f16_e32 v16, v18
	v_cvt_f32_f16_sdwa v19, v19 dst_sel:DWORD dst_unused:UNUSED_PAD src0_sel:WORD_1
	v_cvt_f32_f16_sdwa v18, v18 dst_sel:DWORD dst_unused:UNUSED_PAD src0_sel:WORD_1
	s_waitcnt vmcnt(1)
	v_cvt_f32_f16_e32 v9, v11
	s_waitcnt vmcnt(0)
	v_cvt_f32_f16_e32 v8, v10
	v_cvt_f32_f16_sdwa v11, v11 dst_sel:DWORD dst_unused:UNUSED_PAD src0_sel:WORD_1
	v_cvt_f32_f16_sdwa v10, v10 dst_sel:DWORD dst_unused:UNUSED_PAD src0_sel:WORD_1
	v_pk_add_f32 v[8:9], v[8:9], v[10:11]
	buffer_load_dword v10, off, s[28:31], 0 offset:32 ; 4-byte Folded Reload
	buffer_load_dword v11, off, s[28:31], 0 offset:36 ; 4-byte Folded Reload
	s_waitcnt vmcnt(0)
	v_pk_fma_f32 v[8:9], v[8:9], v[34:35], v[10:11]
	v_cvt_f32_f16_e32 v11, v46
	v_cvt_f32_f16_e32 v10, v107
	v_pk_add_f32 v[10:11], v[10:11], v[12:13]
	v_pk_fma_f32 v[8:9], v[10:11], v[34:35], v[8:9]
	v_cvt_f32_f16_e32 v11, v64
	v_cvt_f32_f16_e32 v10, v62
	v_cvt_f32_f16_sdwa v13, v64 dst_sel:DWORD dst_unused:UNUSED_PAD src0_sel:WORD_1
	v_cvt_f32_f16_sdwa v12, v62 dst_sel:DWORD dst_unused:UNUSED_PAD src0_sel:WORD_1
	v_pk_add_f32 v[10:11], v[10:11], v[12:13]
	v_pk_fma_f32 v[8:9], v[10:11], v[34:35], v[8:9]
	v_pk_add_f32 v[10:11], v[16:17], v[18:19]
	v_pk_fma_f32 v[76:77], v[10:11], v[34:35], v[8:9]
	buffer_load_dword v11, off, s[28:31], 0 offset:116 ; 4-byte Folded Reload
	buffer_load_dword v10, off, s[28:31], 0 offset:112 ; 4-byte Folded Reload
	v_pk_fma_f16 v8, v127, v0, 0
	v_pk_fma_f16 v8, v48, v1, v8
	;; [unrolled: 1-line block ×8, first 2 shown]
	v_cvt_f32_f16_e32 v3, v108
	v_cvt_f32_f16_e32 v2, v47
	v_cvt_f32_f16_sdwa v13, v60 dst_sel:DWORD dst_unused:UNUSED_PAD src0_sel:WORD_1
	v_cvt_f32_f16_sdwa v12, v6 dst_sel:DWORD dst_unused:UNUSED_PAD src0_sel:WORD_1
	s_waitcnt vmcnt(1)
	v_cvt_f32_f16_e32 v9, v11
	s_waitcnt vmcnt(0)
	v_cvt_f32_f16_e32 v8, v10
	v_cvt_f32_f16_sdwa v11, v11 dst_sel:DWORD dst_unused:UNUSED_PAD src0_sel:WORD_1
	v_cvt_f32_f16_sdwa v10, v10 dst_sel:DWORD dst_unused:UNUSED_PAD src0_sel:WORD_1
	v_pk_add_f32 v[0:1], v[8:9], v[10:11]
	v_cvt_f32_f16_sdwa v9, v108 dst_sel:DWORD dst_unused:UNUSED_PAD src0_sel:WORD_1
	v_cvt_f32_f16_sdwa v8, v47 dst_sel:DWORD dst_unused:UNUSED_PAD src0_sel:WORD_1
	v_cvt_f32_f16_e32 v11, v60
	v_cvt_f32_f16_e32 v10, v6
	v_pk_fma_f32 v[0:1], v[0:1], v[36:37], v[26:27]
	v_pk_add_f32 v[2:3], v[2:3], v[8:9]
	v_pk_fma_f32 v[0:1], v[2:3], v[36:37], v[0:1]
	v_pk_add_f32 v[2:3], v[10:11], v[12:13]
	v_pk_fma_f32 v[0:1], v[2:3], v[36:37], v[0:1]
	v_cvt_f32_f16_e32 v3, v17
	v_cvt_f32_f16_e32 v2, v16
	v_cvt_f32_f16_sdwa v27, v17 dst_sel:DWORD dst_unused:UNUSED_PAD src0_sel:WORD_1
	v_cvt_f32_f16_sdwa v26, v16 dst_sel:DWORD dst_unused:UNUSED_PAD src0_sel:WORD_1
	v_mov_b32_e32 v6, s11
	ds_read2_b32 v[44:45], v6 offset1:1
	s_add_i32 s11, s4, 0x538
	v_pk_add_f32 v[2:3], v[2:3], v[26:27]
	v_pk_fma_f32 v[26:27], v[2:3], v[36:37], v[0:1]
	buffer_load_dword v3, off, s[28:31], 0 offset:108 ; 4-byte Folded Reload
	buffer_load_dword v2, off, s[28:31], 0 offset:104 ; 4-byte Folded Reload
	v_mov_b32_e32 v6, s11
	ds_read2_b32 v[46:47], v6 offset1:1
	s_waitcnt lgkmcnt(1)
	v_pk_fma_f16 v0, v115, v44, 0
	v_pk_fma_f16 v0, v116, v45, v0
	v_cvt_f32_f16_e32 v9, v95
	v_cvt_f32_f16_e32 v8, v73
	s_waitcnt lgkmcnt(0)
	v_pk_fma_f16 v0, v117, v46, v0
	v_pk_fma_f16 v6, v118, v47, v0
	;; [unrolled: 1-line block ×5, first 2 shown]
	v_cvt_f32_f16_sdwa v11, v95 dst_sel:DWORD dst_unused:UNUSED_PAD src0_sel:WORD_1
	v_cvt_f32_f16_sdwa v10, v73 dst_sel:DWORD dst_unused:UNUSED_PAD src0_sel:WORD_1
	v_pk_fma_f16 v16, v109, v47, v12
	v_cvt_f32_f16_e32 v13, v16
	v_cvt_f32_f16_e32 v12, v6
	v_cvt_f32_f16_sdwa v17, v16 dst_sel:DWORD dst_unused:UNUSED_PAD src0_sel:WORD_1
	v_cvt_f32_f16_sdwa v16, v6 dst_sel:DWORD dst_unused:UNUSED_PAD src0_sel:WORD_1
	s_add_i32 s11, s4, 0x630
	s_waitcnt vmcnt(1)
	v_cvt_f32_f16_e32 v1, v3
	s_waitcnt vmcnt(0)
	v_cvt_f32_f16_e32 v0, v2
	v_cvt_f32_f16_sdwa v3, v3 dst_sel:DWORD dst_unused:UNUSED_PAD src0_sel:WORD_1
	v_cvt_f32_f16_sdwa v2, v2 dst_sel:DWORD dst_unused:UNUSED_PAD src0_sel:WORD_1
	v_pk_add_f32 v[0:1], v[0:1], v[2:3]
	buffer_load_dword v2, off, s[28:31], 0 offset:16 ; 4-byte Folded Reload
	buffer_load_dword v3, off, s[28:31], 0 offset:20 ; 4-byte Folded Reload
	s_waitcnt vmcnt(0)
	v_pk_fma_f32 v[0:1], v[0:1], v[34:35], v[2:3]
	v_pk_add_f32 v[2:3], v[8:9], v[10:11]
	v_cvt_f32_f16_e32 v9, v15
	v_cvt_f32_f16_e32 v8, v58
	v_cvt_f32_f16_sdwa v11, v15 dst_sel:DWORD dst_unused:UNUSED_PAD src0_sel:WORD_1
	v_cvt_f32_f16_sdwa v10, v58 dst_sel:DWORD dst_unused:UNUSED_PAD src0_sel:WORD_1
	v_pk_fma_f32 v[0:1], v[2:3], v[34:35], v[0:1]
	v_pk_add_f32 v[2:3], v[8:9], v[10:11]
	v_pk_fma_f32 v[0:1], v[2:3], v[34:35], v[0:1]
	v_pk_add_f32 v[2:3], v[12:13], v[16:17]
	v_pk_fma_f32 v[22:23], v[2:3], v[34:35], v[0:1]
	buffer_load_dword v3, off, s[28:31], 0 offset:100 ; 4-byte Folded Reload
	buffer_load_dword v2, off, s[28:31], 0 offset:96 ; 4-byte Folded Reload
	;; [unrolled: 1-line block ×4, first 2 shown]
	v_pk_fma_f16 v0, v127, v44, 0
	v_pk_fma_f16 v0, v48, v45, v0
	;; [unrolled: 1-line block ×8, first 2 shown]
	v_cvt_f32_f16_sdwa v9, v93 dst_sel:DWORD dst_unused:UNUSED_PAD src0_sel:WORD_1
	v_cvt_f32_f16_sdwa v8, v75 dst_sel:DWORD dst_unused:UNUSED_PAD src0_sel:WORD_1
	v_cvt_f32_f16_e32 v11, v124
	v_cvt_f32_f16_e32 v10, v7
	v_cvt_f32_f16_sdwa v13, v124 dst_sel:DWORD dst_unused:UNUSED_PAD src0_sel:WORD_1
	v_cvt_f32_f16_sdwa v12, v7 dst_sel:DWORD dst_unused:UNUSED_PAD src0_sel:WORD_1
	;; [unrolled: 1-line block ×3, first 2 shown]
	s_waitcnt vmcnt(3)
	v_cvt_f32_f16_e32 v1, v3
	s_waitcnt vmcnt(2)
	v_cvt_f32_f16_e32 v0, v2
	v_cvt_f32_f16_sdwa v3, v3 dst_sel:DWORD dst_unused:UNUSED_PAD src0_sel:WORD_1
	v_cvt_f32_f16_sdwa v2, v2 dst_sel:DWORD dst_unused:UNUSED_PAD src0_sel:WORD_1
	v_pk_add_f32 v[0:1], v[0:1], v[2:3]
	v_cvt_f32_f16_e32 v3, v93
	v_cvt_f32_f16_e32 v2, v75
	s_waitcnt vmcnt(0)
	v_pk_fma_f32 v[0:1], v[0:1], v[36:37], v[16:17]
	v_pk_add_f32 v[2:3], v[2:3], v[8:9]
	v_pk_fma_f32 v[0:1], v[2:3], v[36:37], v[0:1]
	v_pk_add_f32 v[2:3], v[10:11], v[12:13]
	v_pk_fma_f32 v[0:1], v[2:3], v[36:37], v[0:1]
	v_cvt_f32_f16_e32 v3, v15
	v_cvt_f32_f16_e32 v2, v6
	v_cvt_f32_f16_sdwa v6, v6 dst_sel:DWORD dst_unused:UNUSED_PAD src0_sel:WORD_1
	v_mov_b32_e32 v8, s11
	ds_read2_b32 v[8:9], v8 offset1:1
	s_add_i32 s11, s4, 0x638
	v_pk_add_f32 v[2:3], v[2:3], v[6:7]
	v_pk_fma_f32 v[70:71], v[2:3], v[36:37], v[0:1]
	buffer_load_dword v3, off, s[28:31], 0 offset:92 ; 4-byte Folded Reload
	buffer_load_dword v2, off, s[28:31], 0 offset:88 ; 4-byte Folded Reload
	v_mov_b32_e32 v10, s11
	ds_read2_b32 v[10:11], v10 offset1:1
	s_waitcnt lgkmcnt(1)
	v_pk_fma_f16 v0, v115, v8, 0
	v_pk_fma_f16 v0, v116, v9, v0
	v_cvt_f32_f16_e32 v7, v91
	v_cvt_f32_f16_e32 v6, v65
	s_waitcnt lgkmcnt(0)
	v_pk_fma_f16 v0, v117, v10, v0
	v_pk_fma_f16 v15, v118, v11, v0
	;; [unrolled: 1-line block ×5, first 2 shown]
	v_cvt_f32_f16_sdwa v13, v91 dst_sel:DWORD dst_unused:UNUSED_PAD src0_sel:WORD_1
	v_cvt_f32_f16_sdwa v12, v65 dst_sel:DWORD dst_unused:UNUSED_PAD src0_sel:WORD_1
	v_pk_fma_f16 v18, v109, v11, v16
	v_cvt_f32_f16_e32 v17, v18
	v_cvt_f32_f16_e32 v16, v15
	v_cvt_f32_f16_sdwa v19, v18 dst_sel:DWORD dst_unused:UNUSED_PAD src0_sel:WORD_1
	v_cvt_f32_f16_sdwa v18, v15 dst_sel:DWORD dst_unused:UNUSED_PAD src0_sel:WORD_1
	s_add_i32 s11, s4, 0x730
	s_waitcnt vmcnt(1)
	v_cvt_f32_f16_e32 v1, v3
	s_waitcnt vmcnt(0)
	v_cvt_f32_f16_e32 v0, v2
	v_cvt_f32_f16_sdwa v3, v3 dst_sel:DWORD dst_unused:UNUSED_PAD src0_sel:WORD_1
	v_cvt_f32_f16_sdwa v2, v2 dst_sel:DWORD dst_unused:UNUSED_PAD src0_sel:WORD_1
	v_pk_add_f32 v[0:1], v[0:1], v[2:3]
	buffer_load_dword v2, off, s[28:31], 0 offset:8 ; 4-byte Folded Reload
	buffer_load_dword v3, off, s[28:31], 0 offset:12 ; 4-byte Folded Reload
	s_waitcnt vmcnt(0)
	v_pk_fma_f32 v[0:1], v[0:1], v[34:35], v[2:3]
	v_pk_add_f32 v[2:3], v[6:7], v[12:13]
	v_cvt_f32_f16_e32 v7, v121
	v_cvt_f32_f16_e32 v6, v59
	v_cvt_f32_f16_sdwa v13, v121 dst_sel:DWORD dst_unused:UNUSED_PAD src0_sel:WORD_1
	v_cvt_f32_f16_sdwa v12, v59 dst_sel:DWORD dst_unused:UNUSED_PAD src0_sel:WORD_1
	v_pk_fma_f32 v[0:1], v[2:3], v[34:35], v[0:1]
	v_pk_add_f32 v[2:3], v[6:7], v[12:13]
	v_pk_fma_f32 v[0:1], v[2:3], v[34:35], v[0:1]
	v_pk_add_f32 v[2:3], v[16:17], v[18:19]
	v_pk_fma_f32 v[20:21], v[2:3], v[34:35], v[0:1]
	buffer_load_dword v3, off, s[28:31], 0 offset:84 ; 4-byte Folded Reload
	buffer_load_dword v2, off, s[28:31], 0 offset:80 ; 4-byte Folded Reload
	;; [unrolled: 1-line block ×4, first 2 shown]
	v_pk_fma_f16 v0, v127, v8, 0
	v_pk_fma_f16 v0, v48, v9, v0
	;; [unrolled: 1-line block ×8, first 2 shown]
	v_cvt_f32_f16_sdwa v7, v89 dst_sel:DWORD dst_unused:UNUSED_PAD src0_sel:WORD_1
	v_cvt_f32_f16_sdwa v6, v67 dst_sel:DWORD dst_unused:UNUSED_PAD src0_sel:WORD_1
	v_cvt_f32_f16_e32 v9, v111
	v_cvt_f32_f16_e32 v8, v119
	v_cvt_f32_f16_sdwa v11, v111 dst_sel:DWORD dst_unused:UNUSED_PAD src0_sel:WORD_1
	v_cvt_f32_f16_sdwa v10, v119 dst_sel:DWORD dst_unused:UNUSED_PAD src0_sel:WORD_1
	v_cvt_f32_f16_e32 v19, v13
	v_cvt_f32_f16_e32 v18, v12
	v_cvt_f32_f16_sdwa v45, v13 dst_sel:DWORD dst_unused:UNUSED_PAD src0_sel:WORD_1
	v_cvt_f32_f16_sdwa v44, v12 dst_sel:DWORD dst_unused:UNUSED_PAD src0_sel:WORD_1
	s_waitcnt vmcnt(3)
	v_cvt_f32_f16_e32 v1, v3
	s_waitcnt vmcnt(2)
	v_cvt_f32_f16_e32 v0, v2
	v_cvt_f32_f16_sdwa v3, v3 dst_sel:DWORD dst_unused:UNUSED_PAD src0_sel:WORD_1
	v_cvt_f32_f16_sdwa v2, v2 dst_sel:DWORD dst_unused:UNUSED_PAD src0_sel:WORD_1
	v_pk_add_f32 v[0:1], v[0:1], v[2:3]
	v_cvt_f32_f16_e32 v3, v89
	v_cvt_f32_f16_e32 v2, v67
	s_waitcnt vmcnt(0)
	v_pk_fma_f32 v[0:1], v[0:1], v[36:37], v[16:17]
	v_pk_add_f32 v[2:3], v[2:3], v[6:7]
	v_pk_fma_f32 v[0:1], v[2:3], v[36:37], v[0:1]
	v_pk_add_f32 v[2:3], v[8:9], v[10:11]
	;; [unrolled: 2-line block ×3, first 2 shown]
	v_pk_fma_f32 v[18:19], v[6:7], v[36:37], v[2:3]
	buffer_load_dword v7, off, s[28:31], 0 offset:76 ; 4-byte Folded Reload
	buffer_load_dword v6, off, s[28:31], 0 offset:72 ; 4-byte Folded Reload
	v_mov_b32_e32 v0, s11
	ds_read2_b32 v[46:47], v0 offset1:1
	s_add_i32 s11, s4, 0x738
	v_mov_b32_e32 v0, s11
	ds_read2_b32 v[0:1], v0 offset1:1
	v_cvt_f32_f16_e32 v9, v81
	s_waitcnt lgkmcnt(1)
	v_pk_fma_f16 v2, v115, v46, 0
	v_pk_fma_f16 v2, v116, v47, v2
	v_cvt_f32_f16_e32 v8, v69
	s_waitcnt lgkmcnt(0)
	v_pk_fma_f16 v2, v117, v0, v2
	v_pk_fma_f16 v15, v118, v1, v2
	;; [unrolled: 1-line block ×5, first 2 shown]
	v_cvt_f32_f16_sdwa v11, v81 dst_sel:DWORD dst_unused:UNUSED_PAD src0_sel:WORD_1
	v_cvt_f32_f16_sdwa v10, v69 dst_sel:DWORD dst_unused:UNUSED_PAD src0_sel:WORD_1
	v_pk_fma_f16 v16, v109, v1, v12
	v_cvt_f32_f16_e32 v13, v16
	v_cvt_f32_f16_e32 v12, v15
	v_cvt_f32_f16_sdwa v17, v16 dst_sel:DWORD dst_unused:UNUSED_PAD src0_sel:WORD_1
	v_cvt_f32_f16_sdwa v16, v15 dst_sel:DWORD dst_unused:UNUSED_PAD src0_sel:WORD_1
	s_add_i32 s4, s4, 64
	s_cmp_ge_i32 s24, s25
	s_waitcnt vmcnt(1)
	v_cvt_f32_f16_e32 v3, v7
	s_waitcnt vmcnt(0)
	v_cvt_f32_f16_e32 v2, v6
	v_cvt_f32_f16_sdwa v7, v7 dst_sel:DWORD dst_unused:UNUSED_PAD src0_sel:WORD_1
	v_cvt_f32_f16_sdwa v6, v6 dst_sel:DWORD dst_unused:UNUSED_PAD src0_sel:WORD_1
	v_pk_add_f32 v[2:3], v[2:3], v[6:7]
	buffer_load_dword v6, off, s[28:31], 0  ; 4-byte Folded Reload
	buffer_load_dword v7, off, s[28:31], 0 offset:4 ; 4-byte Folded Reload
	s_waitcnt vmcnt(0)
	v_pk_fma_f32 v[2:3], v[2:3], v[34:35], v[6:7]
	v_pk_add_f32 v[6:7], v[8:9], v[10:11]
	v_cvt_f32_f16_e32 v9, v105
	v_cvt_f32_f16_e32 v8, v61
	v_cvt_f32_f16_sdwa v11, v105 dst_sel:DWORD dst_unused:UNUSED_PAD src0_sel:WORD_1
	v_cvt_f32_f16_sdwa v10, v61 dst_sel:DWORD dst_unused:UNUSED_PAD src0_sel:WORD_1
	v_pk_fma_f32 v[2:3], v[6:7], v[34:35], v[2:3]
	v_pk_add_f32 v[6:7], v[8:9], v[10:11]
	v_pk_fma_f32 v[2:3], v[6:7], v[34:35], v[2:3]
	v_pk_add_f32 v[6:7], v[12:13], v[16:17]
	v_pk_fma_f32 v[16:17], v[6:7], v[34:35], v[2:3]
	v_pk_fma_f16 v2, v127, v46, 0
	v_pk_fma_f16 v3, v125, v46, 0
	;; [unrolled: 1-line block ×6, first 2 shown]
	buffer_load_dword v8, off, s[28:31], 0 offset:68 ; 4-byte Folded Reload
	buffer_load_dword v12, off, s[28:31], 0 offset:140 ; 4-byte Folded Reload
	;; [unrolled: 1-line block ×3, first 2 shown]
	v_pk_fma_f16 v2, v14, v1, v2
	s_waitcnt vmcnt(2)
	v_cvt_f32_f16_e32 v7, v8
	v_cvt_f32_f16_sdwa v9, v8 dst_sel:DWORD dst_unused:UNUSED_PAD src0_sel:WORD_1
	s_waitcnt vmcnt(0)
	v_cvt_f32_f16_e32 v6, v3
	v_cvt_f32_f16_sdwa v8, v3 dst_sel:DWORD dst_unused:UNUSED_PAD src0_sel:WORD_1
	buffer_load_dword v3, off, s[28:31], 0 offset:136 ; 4-byte Folded Reload
	v_cvt_f32_f16_e32 v11, v12
	v_cvt_f32_f16_sdwa v13, v12 dst_sel:DWORD dst_unused:UNUSED_PAD src0_sel:WORD_1
	s_waitcnt vmcnt(0)
	v_cvt_f32_f16_e32 v10, v3
	v_cvt_f32_f16_sdwa v12, v3 dst_sel:DWORD dst_unused:UNUSED_PAD src0_sel:WORD_1
	v_pk_fma_f16 v3, v101, v1, v0
	v_pk_add_f32 v[0:1], v[6:7], v[8:9]
	v_cvt_f32_f16_e32 v7, v83
	v_cvt_f32_f16_e32 v6, v63
	v_cvt_f32_f16_sdwa v9, v83 dst_sel:DWORD dst_unused:UNUSED_PAD src0_sel:WORD_1
	v_cvt_f32_f16_sdwa v8, v63 dst_sel:DWORD dst_unused:UNUSED_PAD src0_sel:WORD_1
	v_pk_fma_f32 v[0:1], v[0:1], v[36:37], v[4:5]
	v_pk_add_f32 v[4:5], v[10:11], v[12:13]
	v_cvt_f32_f16_e32 v11, v3
	v_cvt_f32_f16_e32 v10, v2
	v_cvt_f32_f16_sdwa v3, v3 dst_sel:DWORD dst_unused:UNUSED_PAD src0_sel:WORD_1
	v_cvt_f32_f16_sdwa v2, v2 dst_sel:DWORD dst_unused:UNUSED_PAD src0_sel:WORD_1
	v_pk_fma_f32 v[0:1], v[4:5], v[36:37], v[0:1]
	v_pk_add_f32 v[4:5], v[6:7], v[8:9]
	v_pk_fma_f32 v[0:1], v[4:5], v[36:37], v[0:1]
	v_pk_add_f32 v[2:3], v[10:11], v[2:3]
	v_pk_fma_f32 v[4:5], v[2:3], v[36:37], v[0:1]
	v_mov_b32_e32 v0, s1
	v_addc_co_u32_e32 v31, vcc, v31, v0, vcc
	s_cbranch_scc1 .LBB45_24
.LBB45_22:                              ; =>This Inner Loop Header: Depth=1
	s_cmp_lg_u32 s24, s10
	buffer_store_dword v16, off, s[28:31], 0 ; 4-byte Folded Spill
	s_nop 0
	buffer_store_dword v17, off, s[28:31], 0 offset:4 ; 4-byte Folded Spill
	buffer_store_dword v20, off, s[28:31], 0 offset:8 ; 4-byte Folded Spill
	s_nop 0
	buffer_store_dword v21, off, s[28:31], 0 offset:12 ; 4-byte Folded Spill
	buffer_store_dword v22, off, s[28:31], 0 offset:16 ; 4-byte Folded Spill
	;; [unrolled: 3-line block ×7, first 2 shown]
	s_nop 0
	buffer_store_dword v85, off, s[28:31], 0 offset:60 ; 4-byte Folded Spill
	s_cbranch_scc1 .LBB45_21
; %bb.23:                               ;   in Loop: Header=BB45_22 Depth=1
	buffer_load_dword v0, off, s[28:31], 0 offset:172 ; 4-byte Folded Reload
	buffer_load_dword v2, off, s[28:31], 0 offset:164 ; 4-byte Folded Reload
	;; [unrolled: 1-line block ×3, first 2 shown]
	s_add_i32 s6, s6, 1
	s_mul_i32 s11, s6, s20
	v_mov_b32_e32 v7, s17
	s_ashr_i32 s12, s11, 31
	s_lshr_b32 s12, s12, 29
	s_add_i32 s12, s11, s12
	s_ashr_i32 s12, s12, 3
	v_mov_b32_e32 v6, s15
	s_add_i32 s10, s10, s5
	s_waitcnt vmcnt(2)
	v_add_u32_e32 v0, s12, v0
	s_waitcnt vmcnt(1)
	v_add_u32_e32 v2, s11, v2
	s_waitcnt vmcnt(0)
	v_ashrrev_i32_e32 v3, 31, v2
	v_lshlrev_b64 v[2:3], 1, v[2:3]
	v_add_co_u32_e32 v2, vcc, s16, v2
	v_addc_co_u32_e32 v3, vcc, v7, v3, vcc
	global_load_dwordx2 v[2:3], v[2:3], off
	v_ashrrev_i32_e32 v1, 31, v0
	v_lshlrev_b64 v[0:1], 2, v[0:1]
	v_add_co_u32_e32 v0, vcc, s14, v0
	v_addc_co_u32_e32 v1, vcc, v6, v1, vcc
	global_load_dword v0, v[0:1], off
	s_waitcnt vmcnt(1)
	v_cvt_f32_f16_e32 v34, v2
	v_cvt_f32_f16_sdwa v35, v2 dst_sel:DWORD dst_unused:UNUSED_PAD src0_sel:WORD_1
	buffer_load_dword v2, off, s[28:31], 0 offset:176 ; 4-byte Folded Reload
	buffer_load_dword v7, off, s[28:31], 0 offset:180 ; 4-byte Folded Reload
	v_cvt_f32_f16_e32 v36, v3
	v_cvt_f32_f16_sdwa v37, v3 dst_sel:DWORD dst_unused:UNUSED_PAD src0_sel:WORD_1
	s_waitcnt vmcnt(1)
	v_lshrrev_b32_e32 v1, v2, v0
	v_bfe_u32 v0, v0, v2, 4
	v_bfe_u32 v2, v1, 4, 4
	v_bfe_u32 v3, v1, 8, 4
	v_bfe_u32 v1, v1, 12, 4
	s_waitcnt vmcnt(0)
	v_add_u32_e32 v0, v0, v7
	v_or_b32_e32 v6, 0xffffe400, v0
	v_cvt_f32_ubyte0_e32 v0, v0
	v_add_u32_e32 v2, v2, v7
	v_add_u32_e32 v3, v3, v7
	;; [unrolled: 1-line block ×3, first 2 shown]
	v_cvt_f16_f32_e32 v0, v0
	v_perm_b32 v50, v6, v6, s8
	v_or_b32_e32 v6, 0xffffe400, v2
	v_cvt_f32_ubyte0_e32 v2, v2
	v_or_b32_e32 v7, 0xffffe400, v3
	v_cvt_f32_ubyte0_e32 v3, v3
	;; [unrolled: 2-line block ×3, first 2 shown]
	v_cvt_f16_f32_e32 v2, v2
	v_cvt_f16_f32_e32 v3, v3
	;; [unrolled: 1-line block ×3, first 2 shown]
	v_sub_f16_e32 v0, 0xd400, v0
	v_pack_b32_f16 v54, v0, v0
	v_sub_f16_e32 v0, 0xd400, v2
	v_sub_f16_e32 v2, 0xd400, v3
	;; [unrolled: 1-line block ×3, first 2 shown]
	v_perm_b32 v52, v6, v6, s8
	v_perm_b32 v51, v7, v7, s8
	v_perm_b32 v53, v8, v8, s8
	v_pack_b32_f16 v57, v0, v0
	v_pack_b32_f16 v56, v2, v2
	;; [unrolled: 1-line block ×3, first 2 shown]
	s_branch .LBB45_21
.LBB45_24:
	buffer_load_dword v0, off, s[28:31], 0 offset:164 ; 4-byte Folded Reload
	buffer_load_dword v1, off, s[28:31], 0 offset:168 ; 4-byte Folded Reload
	s_mul_i32 s7, s7, s20
	v_cvt_f16_f32_e32 v6, v41
	s_mov_b64 s[0:1], 0
	s_waitcnt vmcnt(1)
	v_add_u32_e32 v0, s7, v0
	s_waitcnt vmcnt(0)
	v_ashrrev_i32_e32 v1, 31, v0
	v_lshlrev_b64 v[2:3], 1, v[0:1]
	v_mov_b32_e32 v1, s19
	v_add_co_u32_e32 v2, vcc, s18, v2
	v_addc_co_u32_e32 v3, vcc, v1, v3, vcc
	global_load_dword v15, v[2:3], off
	v_cvt_f16_f32_e32 v1, v40
	v_pack_b32_f16 v1, v1, v6
.LBB45_25:                              ; =>This Inner Loop Header: Depth=1
	s_waitcnt vmcnt(0)
	v_pk_add_f16 v14, v1, v15
	global_atomic_cmpswap v6, v[2:3], v[14:15], off glc
	s_waitcnt vmcnt(0)
	v_cmp_eq_u32_e32 vcc, v15, v6
	s_or_b64 s[0:1], vcc, s[0:1]
	v_mov_b32_e32 v15, v6
	s_andn2_b64 exec, exec, s[0:1]
	s_cbranch_execnz .LBB45_25
; %bb.26:
	s_or_b64 exec, exec, s[0:1]
	global_load_dword v15, v[2:3], off offset:4
	v_cvt_f16_f32_e32 v1, v29
	v_cvt_f16_f32_e32 v6, v28
	s_mov_b64 s[0:1], 0
	v_pack_b32_f16 v1, v6, v1
.LBB45_27:                              ; =>This Inner Loop Header: Depth=1
	s_waitcnt vmcnt(0)
	v_pk_add_f16 v14, v1, v15
	global_atomic_cmpswap v6, v[2:3], v[14:15], off offset:4 glc
	s_waitcnt vmcnt(0)
	v_cmp_eq_u32_e32 vcc, v15, v6
	s_or_b64 s[0:1], vcc, s[0:1]
	v_mov_b32_e32 v15, v6
	s_andn2_b64 exec, exec, s[0:1]
	s_cbranch_execnz .LBB45_27
; %bb.28:
	s_or_b64 exec, exec, s[0:1]
	v_add_u32_e32 v0, s20, v0
	v_ashrrev_i32_e32 v1, 31, v0
	v_lshlrev_b64 v[2:3], 1, v[0:1]
	v_mov_b32_e32 v1, s19
	v_add_co_u32_e32 v2, vcc, s18, v2
	v_addc_co_u32_e32 v3, vcc, v1, v3, vcc
	global_load_dword v15, v[2:3], off
	v_cvt_f16_f32_e32 v1, v39
	v_cvt_f16_f32_e32 v6, v38
	s_mov_b64 s[0:1], 0
	v_pack_b32_f16 v1, v6, v1
.LBB45_29:                              ; =>This Inner Loop Header: Depth=1
	s_waitcnt vmcnt(0)
	v_pk_add_f16 v14, v1, v15
	global_atomic_cmpswap v6, v[2:3], v[14:15], off glc
	s_waitcnt vmcnt(0)
	v_cmp_eq_u32_e32 vcc, v15, v6
	s_or_b64 s[0:1], vcc, s[0:1]
	v_mov_b32_e32 v15, v6
	s_andn2_b64 exec, exec, s[0:1]
	s_cbranch_execnz .LBB45_29
; %bb.30:
	s_or_b64 exec, exec, s[0:1]
	global_load_dword v15, v[2:3], off offset:4
	v_cvt_f16_f32_e32 v1, v25
	v_cvt_f16_f32_e32 v6, v24
	s_mov_b64 s[0:1], 0
	v_pack_b32_f16 v1, v6, v1
.LBB45_31:                              ; =>This Inner Loop Header: Depth=1
	s_waitcnt vmcnt(0)
	v_pk_add_f16 v14, v1, v15
	global_atomic_cmpswap v6, v[2:3], v[14:15], off offset:4 glc
	s_waitcnt vmcnt(0)
	v_cmp_eq_u32_e32 vcc, v15, v6
	s_or_b64 s[0:1], vcc, s[0:1]
	v_mov_b32_e32 v15, v6
	s_andn2_b64 exec, exec, s[0:1]
	s_cbranch_execnz .LBB45_31
; %bb.32:
	s_or_b64 exec, exec, s[0:1]
	v_add_u32_e32 v0, s20, v0
	v_ashrrev_i32_e32 v1, 31, v0
	v_lshlrev_b64 v[2:3], 1, v[0:1]
	v_mov_b32_e32 v1, s19
	v_add_co_u32_e32 v2, vcc, s18, v2
	v_addc_co_u32_e32 v3, vcc, v1, v3, vcc
	global_load_dword v15, v[2:3], off
	v_cvt_f16_f32_e32 v1, v33
	v_cvt_f16_f32_e32 v6, v32
	s_mov_b64 s[0:1], 0
	;; [unrolled: 40-line block ×7, first 2 shown]
	v_pack_b32_f16 v6, v6, v2
.LBB45_53:                              ; =>This Inner Loop Header: Depth=1
	s_waitcnt vmcnt(0)
	v_pk_add_f16 v2, v6, v3
	global_atomic_cmpswap v2, v[0:1], v[2:3], off glc
	s_waitcnt vmcnt(0)
	v_cmp_eq_u32_e32 vcc, v3, v2
	s_or_b64 s[0:1], vcc, s[0:1]
	v_mov_b32_e32 v3, v2
	s_andn2_b64 exec, exec, s[0:1]
	s_cbranch_execnz .LBB45_53
; %bb.54:
	s_or_b64 exec, exec, s[0:1]
	global_load_dword v3, v[0:1], off offset:4
	v_cvt_f16_f32_e32 v2, v5
	v_cvt_f16_f32_e32 v4, v4
	s_mov_b64 s[0:1], 0
	v_pack_b32_f16 v4, v4, v2
.LBB45_55:                              ; =>This Inner Loop Header: Depth=1
	s_waitcnt vmcnt(0)
	v_pk_add_f16 v2, v4, v3
	global_atomic_cmpswap v2, v[0:1], v[2:3], off offset:4 glc
	s_waitcnt vmcnt(0)
	v_cmp_eq_u32_e32 vcc, v3, v2
	s_or_b64 s[0:1], vcc, s[0:1]
	v_mov_b32_e32 v3, v2
	s_andn2_b64 exec, exec, s[0:1]
	s_cbranch_execnz .LBB45_55
.LBB45_56:
	s_endpgm
	.section	.rodata,"a",@progbits
	.p2align	6, 0x0
	.amdhsa_kernel _ZN4vllm4gptq33gemm_half_q_half_gptq_4bit_kernelILb1ELi8EEEvPK6__halfPKjS6_S4_PS2_iiiibPKi
		.amdhsa_group_segment_fixed_size 2048
		.amdhsa_private_segment_fixed_size 188
		.amdhsa_kernarg_size 72
		.amdhsa_user_sgpr_count 6
		.amdhsa_user_sgpr_private_segment_buffer 1
		.amdhsa_user_sgpr_dispatch_ptr 0
		.amdhsa_user_sgpr_queue_ptr 0
		.amdhsa_user_sgpr_kernarg_segment_ptr 1
		.amdhsa_user_sgpr_dispatch_id 0
		.amdhsa_user_sgpr_flat_scratch_init 0
		.amdhsa_user_sgpr_kernarg_preload_length 0
		.amdhsa_user_sgpr_kernarg_preload_offset 0
		.amdhsa_user_sgpr_private_segment_size 0
		.amdhsa_uses_dynamic_stack 0
		.amdhsa_system_sgpr_private_segment_wavefront_offset 1
		.amdhsa_system_sgpr_workgroup_id_x 1
		.amdhsa_system_sgpr_workgroup_id_y 1
		.amdhsa_system_sgpr_workgroup_id_z 1
		.amdhsa_system_sgpr_workgroup_info 0
		.amdhsa_system_vgpr_workitem_id 0
		.amdhsa_next_free_vgpr 128
		.amdhsa_next_free_sgpr 32
		.amdhsa_accum_offset 128
		.amdhsa_reserve_vcc 1
		.amdhsa_reserve_flat_scratch 0
		.amdhsa_float_round_mode_32 0
		.amdhsa_float_round_mode_16_64 0
		.amdhsa_float_denorm_mode_32 3
		.amdhsa_float_denorm_mode_16_64 3
		.amdhsa_dx10_clamp 1
		.amdhsa_ieee_mode 1
		.amdhsa_fp16_overflow 0
		.amdhsa_tg_split 0
		.amdhsa_exception_fp_ieee_invalid_op 0
		.amdhsa_exception_fp_denorm_src 0
		.amdhsa_exception_fp_ieee_div_zero 0
		.amdhsa_exception_fp_ieee_overflow 0
		.amdhsa_exception_fp_ieee_underflow 0
		.amdhsa_exception_fp_ieee_inexact 0
		.amdhsa_exception_int_div_zero 0
	.end_amdhsa_kernel
	.section	.text._ZN4vllm4gptq33gemm_half_q_half_gptq_4bit_kernelILb1ELi8EEEvPK6__halfPKjS6_S4_PS2_iiiibPKi,"axG",@progbits,_ZN4vllm4gptq33gemm_half_q_half_gptq_4bit_kernelILb1ELi8EEEvPK6__halfPKjS6_S4_PS2_iiiibPKi,comdat
.Lfunc_end45:
	.size	_ZN4vllm4gptq33gemm_half_q_half_gptq_4bit_kernelILb1ELi8EEEvPK6__halfPKjS6_S4_PS2_iiiibPKi, .Lfunc_end45-_ZN4vllm4gptq33gemm_half_q_half_gptq_4bit_kernelILb1ELi8EEEvPK6__halfPKjS6_S4_PS2_iiiibPKi
                                        ; -- End function
	.section	.AMDGPU.csdata,"",@progbits
; Kernel info:
; codeLenInByte = 14152
; NumSgprs: 36
; NumVgprs: 128
; NumAgprs: 0
; TotalNumVgprs: 128
; ScratchSize: 188
; MemoryBound: 0
; FloatMode: 240
; IeeeMode: 1
; LDSByteSize: 2048 bytes/workgroup (compile time only)
; SGPRBlocks: 4
; VGPRBlocks: 15
; NumSGPRsForWavesPerEU: 36
; NumVGPRsForWavesPerEU: 128
; AccumOffset: 128
; Occupancy: 4
; WaveLimiterHint : 0
; COMPUTE_PGM_RSRC2:SCRATCH_EN: 1
; COMPUTE_PGM_RSRC2:USER_SGPR: 6
; COMPUTE_PGM_RSRC2:TRAP_HANDLER: 0
; COMPUTE_PGM_RSRC2:TGID_X_EN: 1
; COMPUTE_PGM_RSRC2:TGID_Y_EN: 1
; COMPUTE_PGM_RSRC2:TGID_Z_EN: 1
; COMPUTE_PGM_RSRC2:TIDIG_COMP_CNT: 0
; COMPUTE_PGM_RSRC3_GFX90A:ACCUM_OFFSET: 31
; COMPUTE_PGM_RSRC3_GFX90A:TG_SPLIT: 0
	.section	.text._ZN4vllm4gptq33gemm_half_q_half_gptq_8bit_kernelILb1ELi8EEEvPK6__halfPKjS6_S4_PS2_iiiibPKi,"axG",@progbits,_ZN4vllm4gptq33gemm_half_q_half_gptq_8bit_kernelILb1ELi8EEEvPK6__halfPKjS6_S4_PS2_iiiibPKi,comdat
	.protected	_ZN4vllm4gptq33gemm_half_q_half_gptq_8bit_kernelILb1ELi8EEEvPK6__halfPKjS6_S4_PS2_iiiibPKi ; -- Begin function _ZN4vllm4gptq33gemm_half_q_half_gptq_8bit_kernelILb1ELi8EEEvPK6__halfPKjS6_S4_PS2_iiiibPKi
	.globl	_ZN4vllm4gptq33gemm_half_q_half_gptq_8bit_kernelILb1ELi8EEEvPK6__halfPKjS6_S4_PS2_iiiibPKi
	.p2align	8
	.type	_ZN4vllm4gptq33gemm_half_q_half_gptq_8bit_kernelILb1ELi8EEEvPK6__halfPKjS6_S4_PS2_iiiibPKi,@function
_ZN4vllm4gptq33gemm_half_q_half_gptq_8bit_kernelILb1ELi8EEEvPK6__halfPKjS6_S4_PS2_iiiibPKi: ; @_ZN4vllm4gptq33gemm_half_q_half_gptq_8bit_kernelILb1ELi8EEEvPK6__halfPKjS6_S4_PS2_iiiibPKi
; %bb.0:
	s_mov_b64 s[30:31], s[2:3]
	s_load_dwordx8 s[12:19], s[4:5], 0x8
	s_load_dwordx4 s[20:23], s[4:5], 0x2c
	s_mov_b64 s[28:29], s[0:1]
	s_add_u32 s28, s28, s9
	s_addc_u32 s29, s29, 0
	s_lshl_b32 s24, s8, 7
	s_add_i32 s0, s24, 0x80
	v_cvt_f64_u32_e32 v[2:3], s0
	s_waitcnt lgkmcnt(0)
	v_cvt_f64_i32_e32 v[4:5], s21
	v_min_f64 v[2:3], v[2:3], v[4:5]
	v_cvt_i32_f64_e32 v1, v[2:3]
	v_add_u32_e32 v2, s24, v0
	s_lshl_b32 s7, s7, 3
	v_readfirstlane_b32 s25, v1
	v_cmp_lt_u32_e32 vcc, v2, v1
	s_and_saveexec_b64 s[2:3], vcc
	s_cbranch_execz .LBB46_18
; %bb.1:
	s_load_dwordx2 s[0:1], s[4:5], 0x40
	s_load_dwordx2 s[8:9], s[4:5], 0x0
	v_mov_b32_e32 v3, 0
	v_lshlrev_b64 v[4:5], 2, v[2:3]
	v_pk_mov_b32 v[6:7], v[2:3], v[2:3] op_sel:[0,1]
	s_waitcnt lgkmcnt(0)
	s_cmp_lg_u64 s[0:1], 0
	v_mov_b32_e32 v1, s1
	v_add_co_u32_e32 v4, vcc, s0, v4
	s_cselect_b64 s[4:5], -1, 0
	s_cmp_eq_u64 s[0:1], 0
	v_addc_co_u32_e32 v5, vcc, v1, v5, vcc
	s_cbranch_scc1 .LBB46_3
; %bb.2:
	global_load_dword v6, v[4:5], off
	s_waitcnt vmcnt(0)
	v_ashrrev_i32_e32 v7, 31, v6
.LBB46_3:
	s_mul_i32 s10, s7, s21
	s_ashr_i32 s11, s10, 31
	s_lshl_b64 s[0:1], s[10:11], 1
	s_add_u32 s0, s8, s0
	s_addc_u32 s1, s9, s1
	v_lshlrev_b64 v[6:7], 1, v[6:7]
	v_mov_b32_e32 v1, s1
	v_add_co_u32_e32 v6, vcc, s0, v6
	v_addc_co_u32_e32 v7, vcc, v1, v7, vcc
	global_load_ushort v6, v[6:7], off
	v_lshlrev_b32_e32 v1, 1, v0
	v_cndmask_b32_e64 v7, 0, 1, s[4:5]
	v_cmp_ne_u32_e64 s[0:1], 1, v7
	s_andn2_b64 vcc, exec, s[4:5]
	s_waitcnt vmcnt(0)
	ds_write_b16 v1, v6
	v_pk_mov_b32 v[6:7], v[2:3], v[2:3] op_sel:[0,1]
	s_cbranch_vccnz .LBB46_5
; %bb.4:
	global_load_dword v6, v[4:5], off
	s_waitcnt vmcnt(0)
	v_ashrrev_i32_e32 v7, 31, v6
.LBB46_5:
	s_add_i32 s4, s10, s21
	s_ashr_i32 s5, s4, 31
	s_lshl_b64 s[10:11], s[4:5], 1
	s_add_u32 s5, s8, s10
	s_addc_u32 s10, s9, s11
	v_lshlrev_b64 v[6:7], 1, v[6:7]
	v_mov_b32_e32 v8, s10
	v_add_co_u32_e32 v6, vcc, s5, v6
	v_addc_co_u32_e32 v7, vcc, v8, v7, vcc
	global_load_ushort v6, v[6:7], off
	s_and_b64 vcc, exec, s[0:1]
	s_waitcnt vmcnt(0)
	ds_write_b16 v1, v6 offset:256
	v_pk_mov_b32 v[6:7], v[2:3], v[2:3] op_sel:[0,1]
	s_cbranch_vccnz .LBB46_7
; %bb.6:
	global_load_dword v6, v[4:5], off
	s_waitcnt vmcnt(0)
	v_ashrrev_i32_e32 v7, 31, v6
.LBB46_7:
	s_add_i32 s4, s4, s21
	s_ashr_i32 s5, s4, 31
	s_lshl_b64 s[10:11], s[4:5], 1
	s_add_u32 s5, s8, s10
	s_addc_u32 s10, s9, s11
	v_lshlrev_b64 v[6:7], 1, v[6:7]
	v_mov_b32_e32 v8, s10
	v_add_co_u32_e32 v6, vcc, s5, v6
	v_addc_co_u32_e32 v7, vcc, v8, v7, vcc
	global_load_ushort v6, v[6:7], off
	s_and_b64 vcc, exec, s[0:1]
	s_waitcnt vmcnt(0)
	ds_write_b16 v1, v6 offset:512
	;; [unrolled: 20-line block ×6, first 2 shown]
	s_cbranch_vccnz .LBB46_17
; %bb.16:
	global_load_dword v2, v[4:5], off
	s_waitcnt vmcnt(0)
	v_ashrrev_i32_e32 v3, 31, v2
.LBB46_17:
	s_add_i32 s0, s4, s21
	s_ashr_i32 s1, s0, 31
	s_lshl_b64 s[0:1], s[0:1], 1
	s_add_u32 s0, s8, s0
	s_addc_u32 s1, s9, s1
	v_lshlrev_b64 v[2:3], 1, v[2:3]
	v_mov_b32_e32 v4, s1
	v_add_co_u32_e32 v2, vcc, s0, v2
	v_addc_co_u32_e32 v3, vcc, v4, v3, vcc
	global_load_ushort v2, v[2:3], off
	s_waitcnt vmcnt(0)
	ds_write_b16 v1, v2 offset:1792
.LBB46_18:
	s_or_b64 exec, exec, s[2:3]
	v_lshlrev_b32_e32 v0, 2, v0
	v_lshl_add_u32 v2, s6, 9, v0
	v_mov_b32_e32 v0, v2
	v_cmp_gt_i32_e32 vcc, s20, v2
	buffer_store_dword v0, off, s[28:31], 0 offset:572 ; 4-byte Folded Spill
	s_nop 0
	buffer_store_dword v1, off, s[28:31], 0 offset:576 ; 4-byte Folded Spill
	s_and_saveexec_b64 s[0:1], vcc
	s_cbranch_execz .LBB46_57
; %bb.19:
	s_abs_i32 s0, s22
	v_cvt_f32_u32_e32 v0, s0
	s_mov_b32 s2, 0
	v_mov_b32_e32 v113, 0
	v_mov_b32_e32 v127, 0
	v_rcp_iflag_f32_e32 v0, v0
	v_mov_b32_e32 v42, 0
	v_mov_b32_e32 v18, 0
	s_cmp_ge_i32 s24, s25
	v_mul_f32_e32 v0, 0x4f7ffffe, v0
	v_cvt_u32_f32_e32 v0, v0
	v_mov_b32_e32 v38, 0
	v_mov_b32_e32 v17, 0
	;; [unrolled: 1-line block ×3, first 2 shown]
	v_readfirstlane_b32 s1, v0
	v_mov_b32_e32 v16, 0
	v_mov_b32_e32 v22, 0
	;; [unrolled: 1-line block ×9, first 2 shown]
	s_waitcnt lgkmcnt(0)
	s_barrier
	s_cbranch_scc1 .LBB46_25
; %bb.20:
	buffer_load_dword v2, off, s[28:31], 0 offset:572 ; 4-byte Folded Reload
	buffer_load_dword v3, off, s[28:31], 0 offset:576 ; 4-byte Folded Reload
	s_sub_i32 s6, 0, s0
	s_mul_i32 s6, s6, s1
	s_mul_hi_u32 s6, s1, s6
	s_abs_i32 s5, s21
	s_add_i32 s1, s1, s6
	s_ashr_i32 s3, s21, 31
	s_ashr_i32 s4, s22, 31
	s_mul_hi_u32 s1, s5, s1
	s_xor_b32 s3, s3, s4
	s_mul_i32 s4, s1, s0
	s_sub_i32 s4, s5, s4
	s_add_i32 s5, s1, 1
	s_sub_i32 s6, s4, s0
	s_cmp_ge_u32 s4, s0
	s_cselect_b32 s1, s5, s1
	s_cselect_b32 s4, s6, s4
	s_add_i32 s5, s1, 1
	s_cmp_ge_u32 s4, s0
	s_cselect_b32 s0, s5, s1
	s_xor_b32 s0, s0, s3
	s_sub_i32 s3, s0, s3
	v_cvt_f32_u32_e32 v0, s3
	s_bitcmp1_b32 s23, 0
	s_cselect_b64 s[0:1], -1, 0
	s_sub_i32 s4, 0, s3
	v_rcp_iflag_f32_e32 v0, v0
	s_xor_b64 s[0:1], s[0:1], -1
	v_mov_b32_e32 v5, s15
	v_mov_b32_e32 v4, s17
	v_mul_f32_e32 v0, 0x4f7ffffe, v0
	v_cvt_u32_f32_e32 v0, v0
	v_mov_b32_e32 v7, 0
	v_mov_b32_e32 v32, 0
	;; [unrolled: 1-line block ×3, first 2 shown]
	v_readfirstlane_b32 s5, v0
	s_mul_i32 s4, s4, s5
	s_mul_hi_u32 s4, s5, s4
	s_add_i32 s5, s5, s4
	s_mul_hi_u32 s4, s24, s5
	s_mul_i32 s5, s4, s3
	s_sub_i32 s5, s24, s5
	s_add_i32 s6, s4, 1
	s_sub_i32 s8, s5, s3
	s_cmp_ge_u32 s5, s3
	s_cselect_b32 s4, s6, s4
	s_cselect_b32 s5, s8, s5
	s_add_i32 s6, s4, 1
	s_cmp_ge_u32 s5, s3
	s_cselect_b32 s4, s6, s4
	s_mul_i32 s5, s4, s20
	s_ashr_i32 s6, s5, 31
	s_lshr_b32 s6, s6, 30
	v_mov_b32_e32 v19, 0
	v_mov_b32_e32 v8, 0
	;; [unrolled: 1-line block ×13, first 2 shown]
	s_waitcnt vmcnt(1)
	v_mov_b32_e32 v10, v2
	v_add_u32_e32 v0, s5, v10
	s_add_i32 s5, s5, s6
	v_ashrrev_i32_e32 v2, 2, v10
	s_ashr_i32 s5, s5, 2
	buffer_store_dword v2, off, s[28:31], 0 offset:580 ; 4-byte Folded Spill
	v_add_u32_e32 v2, s5, v2
	s_waitcnt vmcnt(1)
	v_ashrrev_i32_e32 v3, 31, v2
	v_lshlrev_b64 v[2:3], 2, v[2:3]
	v_add_co_u32_e32 v2, vcc, s14, v2
	v_addc_co_u32_e32 v3, vcc, v5, v3, vcc
	global_load_dword v2, v[2:3], off
	v_ashrrev_i32_e32 v1, 31, v0
	v_lshlrev_b64 v[0:1], 1, v[0:1]
	v_cndmask_b32_e64 v3, 0, 1, s[0:1]
	s_lshr_b32 s0, s24, 2
	v_add_co_u32_e32 v0, vcc, s16, v0
	s_mul_i32 s0, s0, s20
	v_addc_co_u32_e32 v1, vcc, v4, v1, vcc
	s_ashr_i32 s1, s0, 31
	global_load_dwordx2 v[20:21], v[0:1], off
	v_mov_b32_e32 v0, v10
	s_lshl_b64 s[0:1], s[0:1], 2
	v_ashrrev_i32_e32 v11, 31, v10
	buffer_store_dword v0, off, s[28:31], 0 offset:572 ; 4-byte Folded Spill
	s_nop 0
	buffer_store_dword v1, off, s[28:31], 0 offset:576 ; 4-byte Folded Spill
	s_add_u32 s6, s12, s0
	v_lshlrev_b64 v[0:1], 2, v[10:11]
	s_addc_u32 s0, s13, s1
	buffer_store_dword v3, off, s[28:31], 0 offset:568 ; 4-byte Folded Spill
	v_mov_b32_e32 v3, s0
	v_add_co_u32_e32 v0, vcc, s6, v0
	v_addc_co_u32_e32 v1, vcc, v3, v1, vcc
	s_ashr_i32 s21, s20, 31
	s_add_i32 s5, s3, s24
	s_lshl_b64 s[0:1], s[20:21], 2
	s_waitcnt vmcnt(4)
	v_and_b32_e32 v10, 0xff, v2
	v_bfe_u32 v3, v2, 8, 8
	buffer_store_dword v10, off, s[28:31], 0 offset:504 ; 4-byte Folded Spill
	s_nop 0
	buffer_store_dword v11, off, s[28:31], 0 offset:508 ; 4-byte Folded Spill
	buffer_store_dword v12, off, s[28:31], 0 offset:512 ; 4-byte Folded Spill
	;; [unrolled: 1-line block ×4, first 2 shown]
	s_nop 0
	buffer_store_dword v3, off, s[28:31], 0 offset:524 ; 4-byte Folded Spill
	buffer_store_dword v4, off, s[28:31], 0 offset:528 ; 4-byte Folded Spill
	;; [unrolled: 1-line block ×3, first 2 shown]
	v_bfe_u32 v10, v2, 16, 8
	v_lshrrev_b32_e32 v3, 24, v2
	buffer_store_dword v8, off, s[28:31], 0 offset:536 ; 4-byte Folded Spill
	s_nop 0
	buffer_store_dword v9, off, s[28:31], 0 offset:540 ; 4-byte Folded Spill
	buffer_store_dword v10, off, s[28:31], 0 offset:544 ; 4-byte Folded Spill
	;; [unrolled: 1-line block ×4, first 2 shown]
	s_nop 0
	buffer_store_dword v1, off, s[28:31], 0 offset:556 ; 4-byte Folded Spill
	buffer_store_dword v2, off, s[28:31], 0 offset:560 ; 4-byte Folded Spill
	buffer_store_dword v3, off, s[28:31], 0 offset:564 ; 4-byte Folded Spill
	s_branch .LBB46_23
.LBB46_21:                              ;   in Loop: Header=BB46_23 Depth=1
	buffer_load_dword v2, off, s[28:31], 0 offset:580 ; 4-byte Folded Reload
	s_add_i32 s4, s4, 1
	s_mul_i32 s6, s4, s20
	s_ashr_i32 s8, s6, 31
	s_lshr_b32 s8, s8, 30
	s_add_i32 s8, s6, s8
	s_ashr_i32 s8, s8, 2
	v_mov_b32_e32 v4, s15
	v_mov_b32_e32 v5, s17
	s_add_i32 s5, s5, s3
	s_waitcnt vmcnt(0)
	v_add_u32_e32 v2, s8, v2
	v_ashrrev_i32_e32 v3, 31, v2
	v_lshlrev_b64 v[2:3], 2, v[2:3]
	v_add_co_u32_e32 v2, vcc, s14, v2
	v_addc_co_u32_e32 v3, vcc, v4, v3, vcc
	global_load_dword v4, v[2:3], off
	s_nop 0
	buffer_load_dword v2, off, s[28:31], 0 offset:572 ; 4-byte Folded Reload
	buffer_load_dword v3, off, s[28:31], 0 offset:576 ; 4-byte Folded Reload
	s_waitcnt vmcnt(2)
	v_and_b32_e32 v8, 0xff, v4
	s_waitcnt vmcnt(1)
	v_add_u32_e32 v2, s6, v2
	s_waitcnt vmcnt(0)
	v_ashrrev_i32_e32 v3, 31, v2
	v_lshlrev_b64 v[2:3], 1, v[2:3]
	v_add_co_u32_e32 v2, vcc, s16, v2
	v_addc_co_u32_e32 v3, vcc, v5, v3, vcc
	global_load_dwordx2 v[2:3], v[2:3], off
	v_bfe_u32 v12, v4, 16, 8
	v_lshrrev_b32_e32 v11, 24, v4
	s_waitcnt vmcnt(0)
	buffer_store_dword v2, off, s[28:31], 0 offset:56 ; 4-byte Folded Spill
	s_nop 0
	buffer_store_dword v3, off, s[28:31], 0 offset:60 ; 4-byte Folded Spill
	v_bfe_u32 v3, v4, 8, 8
.LBB46_22:                              ;   in Loop: Header=BB46_23 Depth=1
	v_mov_b32_e32 v9, v3
	global_load_dwordx4 v[4:7], v[0:1], off
	buffer_load_dword v2, off, s[28:31], 0 offset:568 ; 4-byte Folded Reload
	s_nop 0
	buffer_store_dword v8, off, s[28:31], 0 offset:520 ; 4-byte Folded Spill
	s_nop 0
	buffer_store_dword v9, off, s[28:31], 0 offset:524 ; 4-byte Folded Spill
	buffer_store_dword v10, off, s[28:31], 0 offset:528 ; 4-byte Folded Spill
	;; [unrolled: 1-line block ×3, first 2 shown]
	v_mov_b32_e32 v126, s2
	v_mov_b32_e32 v115, s1
	s_add_i32 s2, s2, 64
	s_add_i32 s24, s24, 32
	s_cmp_ge_i32 s24, s25
	v_mov_b32_e32 v10, v8
	buffer_store_dword v10, off, s[28:31], 0 offset:504 ; 4-byte Folded Spill
	s_nop 0
	buffer_store_dword v11, off, s[28:31], 0 offset:508 ; 4-byte Folded Spill
	buffer_store_dword v12, off, s[28:31], 0 offset:512 ; 4-byte Folded Spill
	buffer_store_dword v13, off, s[28:31], 0 offset:516 ; 4-byte Folded Spill
	s_waitcnt vmcnt(8)
	v_add_u32_e32 v117, v3, v2
	v_add_u32_e32 v112, v8, v2
	v_sub_u32_sdwa v13, v4, v112 dst_sel:DWORD dst_unused:UNUSED_PAD src0_sel:BYTE_1 src1_sel:DWORD
	v_cvt_f32_i32_e32 v13, v13
	v_cvt_f16_f32_e32 v13, v13
	v_cvt_f32_f16_e32 v26, v13
	v_mov_b32_e32 v3, v11
	buffer_store_dword v0, off, s[28:31], 0 offset:552 ; 4-byte Folded Spill
	s_nop 0
	buffer_store_dword v1, off, s[28:31], 0 offset:556 ; 4-byte Folded Spill
	buffer_store_dword v2, off, s[28:31], 0 offset:560 ; 4-byte Folded Spill
	;; [unrolled: 1-line block ×3, first 2 shown]
	v_mov_b32_e32 v8, v12
	buffer_store_dword v6, off, s[28:31], 0 offset:536 ; 4-byte Folded Spill
	s_nop 0
	buffer_store_dword v7, off, s[28:31], 0 offset:540 ; 4-byte Folded Spill
	buffer_store_dword v8, off, s[28:31], 0 offset:544 ; 4-byte Folded Spill
	;; [unrolled: 1-line block ×3, first 2 shown]
	v_sub_u32_sdwa v3, v5, v117 dst_sel:DWORD dst_unused:UNUSED_PAD src0_sel:BYTE_0 src1_sel:DWORD
	v_sub_u32_sdwa v9, v4, v112 dst_sel:DWORD dst_unused:UNUSED_PAD src0_sel:BYTE_0 src1_sel:DWORD
	v_cvt_f32_i32_e32 v3, v3
	v_cvt_f32_i32_e32 v9, v9
	ds_read_b128 v[66:69], v126 offset:256
	ds_read_b128 v[94:97], v126
	ds_read_b128 v[70:73], v126 offset:512
	ds_read_b128 v[74:77], v126 offset:768
	;; [unrolled: 1-line block ×6, first 2 shown]
	s_waitcnt lgkmcnt(7)
	v_cvt_f32_f16_e32 v8, v66
	v_cvt_f16_f32_e32 v3, v3
	v_cvt_f16_f32_e32 v9, v9
	s_waitcnt lgkmcnt(5)
	v_cvt_f32_f16_e32 v10, v70
	s_waitcnt lgkmcnt(3)
	v_cvt_f32_f16_e32 v14, v78
	;; [unrolled: 2-line block ×5, first 2 shown]
	v_cvt_f32_f16_e32 v25, v3
	v_cvt_f32_f16_e32 v24, v9
	v_cvt_f32_f16_sdwa v22, v94 dst_sel:DWORD dst_unused:UNUSED_PAD src0_sel:WORD_1
	v_cvt_f32_f16_sdwa v44, v70 dst_sel:DWORD dst_unused:UNUSED_PAD src0_sel:WORD_1
	;; [unrolled: 1-line block ×3, first 2 shown]
	v_pk_fma_f32 v[32:33], v[24:25], v[8:9], 0 op_sel_hi:[1,0,0]
	v_pk_fma_f32 v[42:43], v[24:25], v[18:19], 0 op_sel_hi:[1,0,0]
	v_cvt_f32_f16_sdwa v48, v78 dst_sel:DWORD dst_unused:UNUSED_PAD src0_sel:WORD_1
	v_cvt_f32_f16_sdwa v50, v82 dst_sel:DWORD dst_unused:UNUSED_PAD src0_sel:WORD_1
	;; [unrolled: 1-line block ×4, first 2 shown]
	v_add_u32_e32 v114, v11, v2
	v_add_u32_e32 v116, v12, v2
	v_sub_u32_sdwa v15, v7, v114 dst_sel:DWORD dst_unused:UNUSED_PAD src0_sel:BYTE_0 src1_sel:DWORD
	v_sub_u32_sdwa v17, v6, v116 dst_sel:DWORD dst_unused:UNUSED_PAD src0_sel:BYTE_0 src1_sel:DWORD
	v_cvt_f32_i32_e32 v15, v15
	v_cvt_f32_i32_e32 v17, v17
	v_sub_u32_sdwa v11, v5, v117 dst_sel:DWORD dst_unused:UNUSED_PAD src0_sel:BYTE_1 src1_sel:DWORD
	v_cvt_f32_i32_e32 v11, v11
	v_cvt_f16_f32_e32 v15, v15
	v_cvt_f16_f32_e32 v17, v17
	v_cvt_f32_f16_e32 v2, v94
	v_cvt_f32_f16_e32 v12, v74
	v_cvt_f16_f32_e32 v11, v11
	v_cvt_f32_f16_e32 v29, v15
	v_cvt_f32_f16_e32 v28, v17
	v_pk_fma_f32 v[30:31], v[24:25], v[2:3], 0 op_sel_hi:[1,0,0]
	v_cvt_f32_f16_e32 v27, v11
	v_pk_fma_f32 v[34:35], v[24:25], v[10:11], 0 op_sel_hi:[1,0,0]
	v_pk_fma_f32 v[36:37], v[24:25], v[12:13], 0 op_sel_hi:[1,0,0]
	;; [unrolled: 1-line block ×13, first 2 shown]
	v_cvt_f32_f16_sdwa v28, v66 dst_sel:DWORD dst_unused:UNUSED_PAD src0_sel:WORD_1
	v_pk_fma_f32 v[30:31], v[26:27], v[22:23], v[30:31] op_sel_hi:[1,0,1]
	v_pk_fma_f32 v[34:35], v[26:27], v[44:45], v[34:35] op_sel_hi:[1,0,1]
	;; [unrolled: 1-line block ×8, first 2 shown]
	v_sub_u32_sdwa v23, v7, v114 dst_sel:DWORD dst_unused:UNUSED_PAD src0_sel:BYTE_1 src1_sel:DWORD
	v_sub_u32_sdwa v26, v6, v116 dst_sel:DWORD dst_unused:UNUSED_PAD src0_sel:BYTE_1 src1_sel:DWORD
	v_cvt_f32_i32_e32 v23, v23
	v_cvt_f32_i32_e32 v26, v26
	v_add_co_u32_e32 v124, vcc, s0, v0
	v_cvt_f16_f32_e32 v23, v23
	v_cvt_f16_f32_e32 v26, v26
	v_addc_co_u32_e32 v125, vcc, v1, v115, vcc
	v_cvt_f32_f16_e32 v27, v23
	v_cvt_f32_f16_e32 v26, v26
	v_add_co_u32_e32 v0, vcc, s0, v124
	v_addc_co_u32_e32 v1, vcc, v125, v115, vcc
	v_pk_fma_f32 v[2:3], v[26:27], v[22:23], v[2:3] op_sel_hi:[1,0,1]
	v_sub_u32_sdwa v22, v5, v117 dst_sel:DWORD dst_unused:UNUSED_PAD src0_sel:BYTE_2 src1_sel:DWORD
	v_sub_u32_sdwa v23, v4, v112 dst_sel:DWORD dst_unused:UNUSED_PAD src0_sel:BYTE_2 src1_sel:DWORD
	v_cvt_f32_i32_e32 v22, v22
	v_cvt_f32_i32_e32 v23, v23
	v_pk_fma_f32 v[8:9], v[26:27], v[28:29], v[8:9] op_sel_hi:[1,0,1]
	v_pk_fma_f32 v[10:11], v[26:27], v[44:45], v[10:11] op_sel_hi:[1,0,1]
	v_cvt_f16_f32_e32 v22, v22
	v_cvt_f16_f32_e32 v28, v23
	v_pk_fma_f32 v[12:13], v[26:27], v[46:47], v[12:13] op_sel_hi:[1,0,1]
	v_pk_fma_f32 v[14:15], v[26:27], v[48:49], v[14:15] op_sel_hi:[1,0,1]
	;; [unrolled: 1-line block ×5, first 2 shown]
	v_cvt_f32_f16_e32 v23, v22
	v_cvt_f32_f16_e32 v22, v28
	;; [unrolled: 1-line block ×10, first 2 shown]
	v_pk_fma_f32 v[30:31], v[22:23], v[26:27], v[30:31] op_sel_hi:[1,0,1]
	v_pk_fma_f32 v[32:33], v[22:23], v[28:29], v[32:33] op_sel_hi:[1,0,1]
	;; [unrolled: 1-line block ×8, first 2 shown]
	v_sub_u32_sdwa v24, v7, v114 dst_sel:DWORD dst_unused:UNUSED_PAD src0_sel:BYTE_2 src1_sel:DWORD
	v_sub_u32_sdwa v25, v6, v116 dst_sel:DWORD dst_unused:UNUSED_PAD src0_sel:BYTE_2 src1_sel:DWORD
	v_cvt_f32_i32_e32 v24, v24
	v_cvt_f32_i32_e32 v25, v25
	v_sub_u32_sdwa v5, v5, v117 dst_sel:DWORD dst_unused:UNUSED_PAD src0_sel:BYTE_3 src1_sel:DWORD
	v_sub_u32_sdwa v4, v4, v112 dst_sel:DWORD dst_unused:UNUSED_PAD src0_sel:BYTE_3 src1_sel:DWORD
	v_cvt_f16_f32_e32 v24, v24
	v_cvt_f16_f32_e32 v27, v25
	v_cvt_f32_f16_e32 v25, v24
	v_cvt_f32_f16_e32 v24, v27
	v_pk_fma_f32 v[2:3], v[24:25], v[26:27], v[2:3] op_sel_hi:[1,0,1]
	v_cvt_f32_i32_e32 v26, v5
	v_cvt_f32_i32_e32 v27, v4
	v_pk_fma_f32 v[4:5], v[24:25], v[54:55], v[20:21] op_sel_hi:[1,0,1]
	v_pk_fma_f32 v[8:9], v[24:25], v[28:29], v[8:9] op_sel_hi:[1,0,1]
	v_cvt_f16_f32_e32 v20, v26
	v_cvt_f16_f32_e32 v21, v27
	v_pk_fma_f32 v[10:11], v[24:25], v[44:45], v[10:11] op_sel_hi:[1,0,1]
	v_pk_fma_f32 v[12:13], v[24:25], v[46:47], v[12:13] op_sel_hi:[1,0,1]
	v_pk_fma_f32 v[14:15], v[24:25], v[48:49], v[14:15] op_sel_hi:[1,0,1]
	v_pk_fma_f32 v[16:17], v[24:25], v[50:51], v[16:17] op_sel_hi:[1,0,1]
	v_pk_fma_f32 v[18:19], v[24:25], v[52:53], v[18:19] op_sel_hi:[1,0,1]
	v_sub_u32_sdwa v25, v7, v114 dst_sel:DWORD dst_unused:UNUSED_PAD src0_sel:BYTE_3 src1_sel:DWORD
	v_sub_u32_sdwa v27, v6, v116 dst_sel:DWORD dst_unused:UNUSED_PAD src0_sel:BYTE_3 src1_sel:DWORD
	v_cvt_f32_f16_e32 v7, v20
	v_cvt_f32_f16_e32 v6, v21
	v_cvt_f32_f16_sdwa v20, v67 dst_sel:DWORD dst_unused:UNUSED_PAD src0_sel:WORD_1
	v_cvt_f32_f16_sdwa v24, v71 dst_sel:DWORD dst_unused:UNUSED_PAD src0_sel:WORD_1
	;; [unrolled: 1-line block ×3, first 2 shown]
	v_pk_fma_f32 v[28:29], v[6:7], v[20:21], v[32:33] op_sel_hi:[1,0,1]
	buffer_store_dword v28, off, s[28:31], 0 offset:152 ; 4-byte Folded Spill
	s_nop 0
	buffer_store_dword v29, off, s[28:31], 0 offset:156 ; 4-byte Folded Spill
	v_pk_fma_f32 v[28:29], v[6:7], v[24:25], v[34:35] op_sel_hi:[1,0,1]
	buffer_store_dword v28, off, s[28:31], 0 offset:88 ; 4-byte Folded Spill
	s_nop 0
	buffer_store_dword v29, off, s[28:31], 0 offset:92 ; 4-byte Folded Spill
	v_cvt_f32_f16_sdwa v28, v79 dst_sel:DWORD dst_unused:UNUSED_PAD src0_sel:WORD_1
	v_pk_fma_f32 v[74:75], v[6:7], v[26:27], v[36:37] op_sel_hi:[1,0,1]
	v_pk_fma_f32 v[32:33], v[6:7], v[28:29], v[38:39] op_sel_hi:[1,0,1]
	buffer_store_dword v32, off, s[28:31], 0 offset:64 ; 4-byte Folded Spill
	s_nop 0
	buffer_store_dword v33, off, s[28:31], 0 offset:68 ; 4-byte Folded Spill
	v_cvt_f32_f16_sdwa v32, v83 dst_sel:DWORD dst_unused:UNUSED_PAD src0_sel:WORD_1
	v_pk_fma_f32 v[34:35], v[6:7], v[32:33], v[40:41] op_sel_hi:[1,0,1]
	buffer_store_dword v34, off, s[28:31], 0 offset:72 ; 4-byte Folded Spill
	s_nop 0
	buffer_store_dword v35, off, s[28:31], 0 offset:76 ; 4-byte Folded Spill
	v_cvt_f32_f16_sdwa v34, v87 dst_sel:DWORD dst_unused:UNUSED_PAD src0_sel:WORD_1
	;; [unrolled: 5-line block ×3, first 2 shown]
	v_pk_fma_f32 v[110:111], v[6:7], v[36:37], v[22:23] op_sel_hi:[1,0,1]
	v_cvt_f32_f16_sdwa v22, v95 dst_sel:DWORD dst_unused:UNUSED_PAD src0_sel:WORD_1
	v_pk_fma_f32 v[6:7], v[6:7], v[22:23], v[30:31] op_sel_hi:[1,0,1]
	buffer_store_dword v6, off, s[28:31], 0 offset:168 ; 4-byte Folded Spill
	s_nop 0
	buffer_store_dword v7, off, s[28:31], 0 offset:172 ; 4-byte Folded Spill
	v_cvt_f32_i32_e32 v6, v25
	v_cvt_f32_i32_e32 v7, v27
	v_cvt_f16_f32_e32 v6, v6
	v_cvt_f16_f32_e32 v21, v7
	v_cvt_f32_f16_e32 v7, v6
	v_cvt_f32_f16_e32 v6, v21
	v_pk_fma_f32 v[2:3], v[6:7], v[22:23], v[2:3] op_sel_hi:[1,0,1]
	buffer_store_dword v2, off, s[28:31], 0 offset:96 ; 4-byte Folded Spill
	s_nop 0
	buffer_store_dword v3, off, s[28:31], 0 offset:100 ; 4-byte Folded Spill
	v_pk_fma_f32 v[2:3], v[6:7], v[20:21], v[8:9] op_sel_hi:[1,0,1]
	buffer_store_dword v2, off, s[28:31], 0 offset:104 ; 4-byte Folded Spill
	s_nop 0
	buffer_store_dword v3, off, s[28:31], 0 offset:108 ; 4-byte Folded Spill
	;; [unrolled: 4-line block ×7, first 2 shown]
	global_load_dwordx4 v[98:101], v[0:1], off
	v_pk_fma_f32 v[2:3], v[6:7], v[36:37], v[4:5] op_sel_hi:[1,0,1]
	buffer_store_dword v2, off, s[28:31], 0 offset:160 ; 4-byte Folded Spill
	s_nop 0
	buffer_store_dword v3, off, s[28:31], 0 offset:164 ; 4-byte Folded Spill
	s_waitcnt vmcnt(2)
	v_sub_u32_sdwa v2, v99, v117 dst_sel:DWORD dst_unused:UNUSED_PAD src0_sel:BYTE_0 src1_sel:DWORD
	v_sub_u32_sdwa v3, v98, v112 dst_sel:DWORD dst_unused:UNUSED_PAD src0_sel:BYTE_0 src1_sel:DWORD
	v_cvt_f32_i32_e32 v2, v2
	v_cvt_f32_i32_e32 v3, v3
	v_sub_u32_sdwa v5, v98, v112 dst_sel:DWORD dst_unused:UNUSED_PAD src0_sel:BYTE_1 src1_sel:DWORD
	v_cvt_f32_i32_e32 v5, v5
	v_cvt_f16_f32_e32 v2, v2
	v_cvt_f16_f32_e32 v4, v3
	;; [unrolled: 1-line block ×3, first 2 shown]
	v_cvt_f32_f16_e32 v3, v2
	v_cvt_f32_f16_e32 v2, v4
	v_sub_u32_sdwa v4, v99, v117 dst_sel:DWORD dst_unused:UNUSED_PAD src0_sel:BYTE_1 src1_sel:DWORD
	v_cvt_f32_i32_e32 v4, v4
	v_cvt_f32_f16_e32 v36, v5
	v_cvt_f16_f32_e32 v4, v4
	v_cvt_f32_f16_e32 v37, v4
	ds_read_b128 v[4:7], v126 offset:16
	s_waitcnt lgkmcnt(0)
	v_cvt_f32_f16_e32 v40, v4
	v_cvt_f32_f16_sdwa v4, v4 dst_sel:DWORD dst_unused:UNUSED_PAD src0_sel:WORD_1
	v_mov_b32_e32 v33, v7
	v_mov_b32_e32 v32, v6
	;; [unrolled: 1-line block ×3, first 2 shown]
	buffer_store_dword v30, off, s[28:31], 0 offset:488 ; 4-byte Folded Spill
	s_nop 0
	buffer_store_dword v31, off, s[28:31], 0 offset:492 ; 4-byte Folded Spill
	buffer_store_dword v32, off, s[28:31], 0 offset:496 ; 4-byte Folded Spill
	;; [unrolled: 1-line block ×3, first 2 shown]
	v_pk_fma_f32 v[8:9], v[2:3], v[40:41], 0 op_sel_hi:[1,0,0]
	v_pk_fma_f32 v[38:39], v[36:37], v[4:5], v[8:9] op_sel_hi:[1,0,1]
	ds_read_b128 v[8:11], v126 offset:272
	v_sub_u32_sdwa v5, v101, v114 dst_sel:DWORD dst_unused:UNUSED_PAD src0_sel:BYTE_0 src1_sel:DWORD
	v_sub_u32_sdwa v6, v100, v116 dst_sel:DWORD dst_unused:UNUSED_PAD src0_sel:BYTE_0 src1_sel:DWORD
	v_cvt_f32_i32_e32 v5, v5
	v_cvt_f32_i32_e32 v6, v6
	s_waitcnt lgkmcnt(0)
	v_cvt_f32_f16_e32 v42, v8
	v_cvt_f32_f16_sdwa v8, v8 dst_sel:DWORD dst_unused:UNUSED_PAD src0_sel:WORD_1
	buffer_store_dword v8, off, s[28:31], 0 offset:240 ; 4-byte Folded Spill
	s_nop 0
	buffer_store_dword v9, off, s[28:31], 0 offset:244 ; 4-byte Folded Spill
	buffer_store_dword v10, off, s[28:31], 0 offset:248 ; 4-byte Folded Spill
	;; [unrolled: 1-line block ×3, first 2 shown]
	v_pk_fma_f32 v[12:13], v[2:3], v[42:43], 0 op_sel_hi:[1,0,0]
	v_cvt_f16_f32_e32 v5, v5
	v_cvt_f16_f32_e32 v6, v6
	v_add_co_u32_e32 v30, vcc, s0, v0
	v_pk_fma_f32 v[44:45], v[36:37], v[8:9], v[12:13] op_sel_hi:[1,0,1]
	ds_read_b128 v[12:15], v126 offset:528
	s_waitcnt lgkmcnt(0)
	v_cvt_f32_f16_e32 v46, v12
	v_cvt_f32_f16_sdwa v12, v12 dst_sel:DWORD dst_unused:UNUSED_PAD src0_sel:WORD_1
	buffer_store_dword v12, off, s[28:31], 0 offset:256 ; 4-byte Folded Spill
	s_nop 0
	buffer_store_dword v13, off, s[28:31], 0 offset:260 ; 4-byte Folded Spill
	buffer_store_dword v14, off, s[28:31], 0 offset:264 ; 4-byte Folded Spill
	buffer_store_dword v15, off, s[28:31], 0 offset:268 ; 4-byte Folded Spill
	v_pk_fma_f32 v[16:17], v[2:3], v[46:47], 0 op_sel_hi:[1,0,0]
	v_pk_fma_f32 v[48:49], v[36:37], v[12:13], v[16:17] op_sel_hi:[1,0,1]
	ds_read_b128 v[16:19], v126 offset:784
	s_waitcnt lgkmcnt(0)
	v_cvt_f32_f16_e32 v50, v16
	v_cvt_f32_f16_sdwa v16, v16 dst_sel:DWORD dst_unused:UNUSED_PAD src0_sel:WORD_1
	buffer_store_dword v16, off, s[28:31], 0 offset:272 ; 4-byte Folded Spill
	s_nop 0
	buffer_store_dword v17, off, s[28:31], 0 offset:276 ; 4-byte Folded Spill
	buffer_store_dword v18, off, s[28:31], 0 offset:280 ; 4-byte Folded Spill
	buffer_store_dword v19, off, s[28:31], 0 offset:284 ; 4-byte Folded Spill
	v_pk_fma_f32 v[20:21], v[2:3], v[50:51], 0 op_sel_hi:[1,0,0]
	;; [unrolled: 11-line block ×3, first 2 shown]
	v_pk_fma_f32 v[56:57], v[36:37], v[20:21], v[24:25] op_sel_hi:[1,0,1]
	ds_read_b128 v[24:27], v126 offset:1296
	s_waitcnt lgkmcnt(0)
	v_cvt_f32_f16_e32 v58, v24
	v_cvt_f32_f16_sdwa v24, v24 dst_sel:DWORD dst_unused:UNUSED_PAD src0_sel:WORD_1
	buffer_store_dword v24, off, s[28:31], 0 offset:304 ; 4-byte Folded Spill
	s_nop 0
	buffer_store_dword v25, off, s[28:31], 0 offset:308 ; 4-byte Folded Spill
	buffer_store_dword v26, off, s[28:31], 0 offset:312 ; 4-byte Folded Spill
	;; [unrolled: 1-line block ×3, first 2 shown]
	ds_read_b128 v[106:109], v126 offset:1552
	v_pk_fma_f32 v[28:29], v[2:3], v[58:59], 0 op_sel_hi:[1,0,0]
	s_waitcnt lgkmcnt(0)
	v_cvt_f32_f16_e32 v62, v106
	v_pk_fma_f32 v[32:33], v[2:3], v[62:63], 0 op_sel_hi:[1,0,0]
	v_pk_fma_f32 v[60:61], v[36:37], v[24:25], v[28:29] op_sel_hi:[1,0,1]
	v_cvt_f32_f16_sdwa v28, v106 dst_sel:DWORD dst_unused:UNUSED_PAD src0_sel:WORD_1
	v_pk_fma_f32 v[64:65], v[36:37], v[28:29], v[32:33] op_sel_hi:[1,0,1]
	ds_read_b128 v[32:35], v126 offset:1808
	s_waitcnt lgkmcnt(0)
	v_cvt_f32_f16_e32 v66, v32
	v_cvt_f32_f16_sdwa v32, v32 dst_sel:DWORD dst_unused:UNUSED_PAD src0_sel:WORD_1
	v_pk_fma_f32 v[2:3], v[2:3], v[66:67], 0 op_sel_hi:[1,0,0]
	v_pk_fma_f32 v[2:3], v[36:37], v[32:33], v[2:3] op_sel_hi:[1,0,1]
	v_cvt_f32_f16_e32 v37, v5
	v_cvt_f32_f16_e32 v36, v6
	v_sub_u32_sdwa v5, v101, v114 dst_sel:DWORD dst_unused:UNUSED_PAD src0_sel:BYTE_1 src1_sel:DWORD
	v_sub_u32_sdwa v6, v100, v116 dst_sel:DWORD dst_unused:UNUSED_PAD src0_sel:BYTE_1 src1_sel:DWORD
	v_cvt_f32_i32_e32 v5, v5
	v_cvt_f32_i32_e32 v6, v6
	v_pk_fma_f32 v[40:41], v[36:37], v[40:41], 0 op_sel_hi:[1,0,0]
	v_pk_fma_f32 v[62:63], v[36:37], v[62:63], 0 op_sel_hi:[1,0,0]
	v_cvt_f16_f32_e32 v5, v5
	v_cvt_f16_f32_e32 v6, v6
	v_pk_fma_f32 v[42:43], v[36:37], v[42:43], 0 op_sel_hi:[1,0,0]
	v_pk_fma_f32 v[46:47], v[36:37], v[46:47], 0 op_sel_hi:[1,0,0]
	v_cvt_f32_f16_e32 v71, v5
	v_cvt_f32_f16_e32 v70, v6
	v_pk_fma_f32 v[50:51], v[36:37], v[50:51], 0 op_sel_hi:[1,0,0]
	v_pk_fma_f32 v[54:55], v[36:37], v[54:55], 0 op_sel_hi:[1,0,0]
	;; [unrolled: 1-line block ×4, first 2 shown]
	v_sub_u32_sdwa v4, v99, v117 dst_sel:DWORD dst_unused:UNUSED_PAD src0_sel:BYTE_2 src1_sel:DWORD
	v_sub_u32_sdwa v5, v98, v112 dst_sel:DWORD dst_unused:UNUSED_PAD src0_sel:BYTE_2 src1_sel:DWORD
	v_cvt_f32_i32_e32 v4, v4
	v_cvt_f32_i32_e32 v5, v5
	v_pk_fma_f32 v[62:63], v[70:71], v[28:29], v[62:63] op_sel_hi:[1,0,1]
	v_pk_fma_f32 v[36:37], v[36:37], v[66:67], 0 op_sel_hi:[1,0,0]
	v_cvt_f16_f32_e32 v4, v4
	v_cvt_f16_f32_e32 v5, v5
	v_cvt_f32_f16_e32 v28, v33
	v_pk_fma_f32 v[42:43], v[70:71], v[8:9], v[42:43] op_sel_hi:[1,0,1]
	v_cvt_f32_f16_e32 v67, v4
	v_cvt_f32_f16_e32 v66, v5
	;; [unrolled: 1-line block ×4, first 2 shown]
	v_pk_fma_f32 v[46:47], v[70:71], v[12:13], v[46:47] op_sel_hi:[1,0,1]
	v_pk_fma_f32 v[78:79], v[66:67], v[28:29], v[2:3] op_sel_hi:[1,0,1]
	v_cvt_f32_f16_e32 v2, v31
	v_pk_fma_f32 v[6:7], v[66:67], v[4:5], v[44:45] op_sel_hi:[1,0,1]
	v_sub_u32_sdwa v5, v100, v116 dst_sel:DWORD dst_unused:UNUSED_PAD src0_sel:BYTE_2 src1_sel:DWORD
	v_cvt_f32_i32_e32 v5, v5
	v_pk_fma_f32 v[122:123], v[66:67], v[2:3], v[38:39] op_sel_hi:[1,0,1]
	v_sub_u32_sdwa v3, v101, v114 dst_sel:DWORD dst_unused:UNUSED_PAD src0_sel:BYTE_2 src1_sel:DWORD
	v_cvt_f32_i32_e32 v3, v3
	v_cvt_f32_f16_e32 v12, v17
	buffer_store_dword v6, off, s[28:31], 0 offset:192 ; 4-byte Folded Spill
	s_nop 0
	buffer_store_dword v7, off, s[28:31], 0 offset:196 ; 4-byte Folded Spill
	v_pk_fma_f32 v[50:51], v[70:71], v[16:17], v[50:51] op_sel_hi:[1,0,1]
	v_pk_fma_f32 v[6:7], v[66:67], v[8:9], v[48:49] op_sel_hi:[1,0,1]
	v_cvt_f32_f16_e32 v16, v21
	v_cvt_f16_f32_e32 v3, v3
	v_cvt_f16_f32_e32 v5, v5
	buffer_store_dword v6, off, s[28:31], 0 offset:200 ; 4-byte Folded Spill
	s_nop 0
	buffer_store_dword v7, off, s[28:31], 0 offset:204 ; 4-byte Folded Spill
	v_pk_fma_f32 v[54:55], v[70:71], v[20:21], v[54:55] op_sel_hi:[1,0,1]
	v_pk_fma_f32 v[6:7], v[66:67], v[12:13], v[52:53] op_sel_hi:[1,0,1]
	v_cvt_f32_f16_e32 v20, v25
	buffer_store_dword v6, off, s[28:31], 0 offset:208 ; 4-byte Folded Spill
	s_nop 0
	buffer_store_dword v7, off, s[28:31], 0 offset:212 ; 4-byte Folded Spill
	v_pk_fma_f32 v[58:59], v[70:71], v[24:25], v[58:59] op_sel_hi:[1,0,1]
	v_pk_fma_f32 v[6:7], v[66:67], v[16:17], v[56:57] op_sel_hi:[1,0,1]
	v_cvt_f32_f16_e32 v24, v107
	v_cvt_f32_f16_e32 v39, v3
	;; [unrolled: 1-line block ×3, first 2 shown]
	buffer_store_dword v6, off, s[28:31], 0 offset:216 ; 4-byte Folded Spill
	s_nop 0
	buffer_store_dword v7, off, s[28:31], 0 offset:220 ; 4-byte Folded Spill
	v_pk_fma_f32 v[6:7], v[66:67], v[20:21], v[60:61] op_sel_hi:[1,0,1]
	buffer_store_dword v6, off, s[28:31], 0 offset:224 ; 4-byte Folded Spill
	s_nop 0
	buffer_store_dword v7, off, s[28:31], 0 offset:228 ; 4-byte Folded Spill
	v_pk_fma_f32 v[6:7], v[66:67], v[24:25], v[64:65] op_sel_hi:[1,0,1]
	v_pk_fma_f32 v[94:95], v[38:39], v[2:3], v[40:41] op_sel_hi:[1,0,1]
	;; [unrolled: 1-line block ×3, first 2 shown]
	buffer_store_dword v6, off, s[28:31], 0 offset:232 ; 4-byte Folded Spill
	s_nop 0
	buffer_store_dword v7, off, s[28:31], 0 offset:236 ; 4-byte Folded Spill
	buffer_store_dword v2, off, s[28:31], 0 offset:320 ; 4-byte Folded Spill
	s_nop 0
	buffer_store_dword v3, off, s[28:31], 0 offset:324 ; 4-byte Folded Spill
	v_pk_fma_f32 v[2:3], v[38:39], v[8:9], v[46:47] op_sel_hi:[1,0,1]
	buffer_store_dword v2, off, s[28:31], 0 offset:328 ; 4-byte Folded Spill
	s_nop 0
	buffer_store_dword v3, off, s[28:31], 0 offset:332 ; 4-byte Folded Spill
	v_pk_fma_f32 v[2:3], v[38:39], v[12:13], v[50:51] op_sel_hi:[1,0,1]
	;; [unrolled: 4-line block ×3, first 2 shown]
	buffer_store_dword v2, off, s[28:31], 0 offset:344 ; 4-byte Folded Spill
	s_nop 0
	buffer_store_dword v3, off, s[28:31], 0 offset:348 ; 4-byte Folded Spill
	v_addc_co_u32_e32 v31, vcc, v1, v115, vcc
	v_pk_fma_f32 v[36:37], v[70:71], v[32:33], v[36:37] op_sel_hi:[1,0,1]
	v_pk_fma_f32 v[2:3], v[38:39], v[20:21], v[58:59] op_sel_hi:[1,0,1]
	v_add_co_u32_e32 v70, vcc, s0, v30
	buffer_store_dword v2, off, s[28:31], 0 offset:480 ; 4-byte Folded Spill
	s_nop 0
	buffer_store_dword v3, off, s[28:31], 0 offset:484 ; 4-byte Folded Spill
	v_addc_co_u32_e32 v71, vcc, v31, v115, vcc
	global_load_dwordx4 v[102:105], v[70:71], off
	v_pk_fma_f32 v[90:91], v[38:39], v[24:25], v[62:63] op_sel_hi:[1,0,1]
	v_pk_fma_f32 v[86:87], v[38:39], v[28:29], v[36:37] op_sel_hi:[1,0,1]
	ds_read_b128 v[36:39], v126 offset:288
	s_waitcnt lgkmcnt(0)
	v_cvt_f32_f16_e32 v4, v36
	v_cvt_f32_f16_sdwa v8, v36 dst_sel:DWORD dst_unused:UNUSED_PAD src0_sel:WORD_1
	s_waitcnt vmcnt(0)
	v_sub_u32_sdwa v0, v103, v117 dst_sel:DWORD dst_unused:UNUSED_PAD src0_sel:BYTE_0 src1_sel:DWORD
	v_sub_u32_sdwa v1, v102, v112 dst_sel:DWORD dst_unused:UNUSED_PAD src0_sel:BYTE_0 src1_sel:DWORD
	v_cvt_f32_i32_e32 v0, v0
	v_cvt_f32_i32_e32 v1, v1
	v_cvt_f16_f32_e32 v0, v0
	v_cvt_f16_f32_e32 v1, v1
	v_cvt_f32_f16_e32 v119, v0
	v_cvt_f32_f16_e32 v118, v1
	v_sub_u32_sdwa v0, v103, v117 dst_sel:DWORD dst_unused:UNUSED_PAD src0_sel:BYTE_1 src1_sel:DWORD
	v_sub_u32_sdwa v1, v102, v112 dst_sel:DWORD dst_unused:UNUSED_PAD src0_sel:BYTE_1 src1_sel:DWORD
	v_cvt_f32_i32_e32 v0, v0
	v_cvt_f32_i32_e32 v1, v1
	v_pk_fma_f32 v[40:41], v[118:119], v[4:5], 0 op_sel_hi:[1,0,0]
	v_cvt_f16_f32_e32 v0, v0
	v_cvt_f16_f32_e32 v1, v1
	v_cvt_f32_f16_e32 v121, v0
	v_cvt_f32_f16_e32 v120, v1
	v_pk_fma_f32 v[0:1], v[120:121], v[8:9], v[40:41] op_sel_hi:[1,0,1]
	buffer_store_dword v0, off, s[28:31], 0 offset:352 ; 4-byte Folded Spill
	s_nop 0
	buffer_store_dword v1, off, s[28:31], 0 offset:356 ; 4-byte Folded Spill
	ds_read_b128 v[40:43], v126 offset:544
	s_waitcnt lgkmcnt(0)
	v_cvt_f32_f16_e32 v12, v40
	v_cvt_f32_f16_sdwa v16, v40 dst_sel:DWORD dst_unused:UNUSED_PAD src0_sel:WORD_1
	v_pk_fma_f32 v[44:45], v[118:119], v[12:13], 0 op_sel_hi:[1,0,0]
	v_pk_fma_f32 v[0:1], v[120:121], v[16:17], v[44:45] op_sel_hi:[1,0,1]
	buffer_store_dword v0, off, s[28:31], 0 offset:360 ; 4-byte Folded Spill
	s_nop 0
	buffer_store_dword v1, off, s[28:31], 0 offset:364 ; 4-byte Folded Spill
	ds_read_b128 v[44:47], v126 offset:32
	s_waitcnt lgkmcnt(0)
	v_cvt_f32_f16_e32 v20, v44
	v_cvt_f32_f16_sdwa v24, v44 dst_sel:DWORD dst_unused:UNUSED_PAD src0_sel:WORD_1
	v_pk_fma_f32 v[48:49], v[118:119], v[20:21], 0 op_sel_hi:[1,0,0]
	;; [unrolled: 9-line block ×7, first 2 shown]
	v_pk_fma_f32 v[0:1], v[120:121], v[64:65], v[118:119] op_sel_hi:[1,0,1]
	buffer_store_dword v0, off, s[28:31], 0 offset:424 ; 4-byte Folded Spill
	s_nop 0
	buffer_store_dword v1, off, s[28:31], 0 offset:428 ; 4-byte Folded Spill
	v_sub_u32_sdwa v0, v105, v114 dst_sel:DWORD dst_unused:UNUSED_PAD src0_sel:BYTE_0 src1_sel:DWORD
	v_sub_u32_sdwa v1, v104, v116 dst_sel:DWORD dst_unused:UNUSED_PAD src0_sel:BYTE_0 src1_sel:DWORD
	v_cvt_f32_i32_e32 v0, v0
	v_cvt_f32_i32_e32 v1, v1
	v_cvt_f16_f32_e32 v0, v0
	v_cvt_f16_f32_e32 v1, v1
	v_cvt_f32_f16_e32 v119, v0
	v_cvt_f32_f16_e32 v118, v1
	v_sub_u32_sdwa v0, v105, v114 dst_sel:DWORD dst_unused:UNUSED_PAD src0_sel:BYTE_1 src1_sel:DWORD
	v_sub_u32_sdwa v1, v104, v116 dst_sel:DWORD dst_unused:UNUSED_PAD src0_sel:BYTE_1 src1_sel:DWORD
	v_cvt_f32_i32_e32 v0, v0
	v_cvt_f32_i32_e32 v1, v1
	v_pk_fma_f32 v[82:83], v[118:119], v[20:21], 0 op_sel_hi:[1,0,0]
	v_cvt_f32_f16_e32 v20, v76
	v_cvt_f16_f32_e32 v0, v0
	v_cvt_f16_f32_e32 v1, v1
	v_cvt_f32_f16_e32 v121, v0
	v_cvt_f32_f16_e32 v120, v1
	v_pk_fma_f32 v[0:1], v[120:121], v[24:25], v[82:83] op_sel_hi:[1,0,1]
	buffer_store_dword v0, off, s[28:31], 0 offset:408 ; 4-byte Folded Spill
	s_nop 0
	buffer_store_dword v1, off, s[28:31], 0 offset:412 ; 4-byte Folded Spill
	v_pk_fma_f32 v[82:83], v[118:119], v[4:5], 0 op_sel_hi:[1,0,0]
	v_pk_fma_f32 v[0:1], v[120:121], v[8:9], v[82:83] op_sel_hi:[1,0,1]
	buffer_store_dword v0, off, s[28:31], 0 offset:416 ; 4-byte Folded Spill
	s_nop 0
	buffer_store_dword v1, off, s[28:31], 0 offset:420 ; 4-byte Folded Spill
	v_pk_fma_f32 v[82:83], v[118:119], v[12:13], 0 op_sel_hi:[1,0,0]
	;; [unrolled: 5-line block ×7, first 2 shown]
	v_pk_fma_f32 v[0:1], v[120:121], v[64:65], v[82:83] op_sel_hi:[1,0,1]
	buffer_store_dword v0, off, s[28:31], 0 offset:472 ; 4-byte Folded Spill
	s_nop 0
	buffer_store_dword v1, off, s[28:31], 0 offset:476 ; 4-byte Folded Spill
	global_load_dwordx4 v[118:121], v[124:125], off
	v_cvt_f32_f16_e32 v4, v96
	v_cvt_f32_f16_e32 v12, v68
	;; [unrolled: 1-line block ×7, first 2 shown]
	v_cvt_f32_f16_sdwa v36, v68 dst_sel:DWORD dst_unused:UNUSED_PAD src0_sel:WORD_1
	v_cvt_f32_f16_sdwa v40, v72 dst_sel:DWORD dst_unused:UNUSED_PAD src0_sel:WORD_1
	;; [unrolled: 1-line block ×6, first 2 shown]
	s_waitcnt vmcnt(0)
	v_sub_u32_sdwa v0, v119, v117 dst_sel:DWORD dst_unused:UNUSED_PAD src0_sel:BYTE_0 src1_sel:DWORD
	v_sub_u32_sdwa v1, v118, v112 dst_sel:DWORD dst_unused:UNUSED_PAD src0_sel:BYTE_0 src1_sel:DWORD
	v_cvt_f32_i32_e32 v0, v0
	v_cvt_f32_i32_e32 v1, v1
	v_sub_u32_sdwa v60, v120, v116 dst_sel:DWORD dst_unused:UNUSED_PAD src0_sel:BYTE_1 src1_sel:DWORD
	v_cvt_f32_i32_e32 v60, v60
	v_cvt_f16_f32_e32 v0, v0
	v_cvt_f16_f32_e32 v1, v1
	v_sub_u32_sdwa v72, v120, v116 dst_sel:DWORD dst_unused:UNUSED_PAD src0_sel:BYTE_3 src1_sel:DWORD
	v_cvt_f16_f32_e32 v60, v60
	v_cvt_f32_f16_e32 v83, v0
	v_cvt_f32_f16_e32 v82, v1
	buffer_load_dword v0, off, s[28:31], 0 offset:168 ; 4-byte Folded Reload
	buffer_load_dword v1, off, s[28:31], 0 offset:172 ; 4-byte Folded Reload
	v_pk_fma_f32 v[110:111], v[82:83], v[8:9], v[110:111] op_sel_hi:[1,0,1]
	v_pk_fma_f32 v[6:7], v[82:83], v[20:21], v[74:75] op_sel_hi:[1,0,1]
	s_waitcnt vmcnt(0)
	v_pk_fma_f32 v[124:125], v[82:83], v[4:5], v[0:1] op_sel_hi:[1,0,1]
	buffer_load_dword v0, off, s[28:31], 0 offset:152 ; 4-byte Folded Reload
	buffer_load_dword v1, off, s[28:31], 0 offset:156 ; 4-byte Folded Reload
	s_waitcnt vmcnt(0)
	v_pk_fma_f32 v[18:19], v[82:83], v[12:13], v[0:1] op_sel_hi:[1,0,1]
	buffer_load_dword v0, off, s[28:31], 0 offset:88 ; 4-byte Folded Reload
	buffer_load_dword v1, off, s[28:31], 0 offset:92 ; 4-byte Folded Reload
	;; [unrolled: 4-line block ×5, first 2 shown]
	buffer_load_dword v22, off, s[28:31], 0 offset:160 ; 4-byte Folded Reload
	buffer_load_dword v23, off, s[28:31], 0 offset:164 ; 4-byte Folded Reload
	s_waitcnt vmcnt(2)
	v_pk_fma_f32 v[82:83], v[82:83], v[32:33], v[0:1] op_sel_hi:[1,0,1]
	v_sub_u32_sdwa v0, v120, v116 dst_sel:DWORD dst_unused:UNUSED_PAD src0_sel:BYTE_0 src1_sel:DWORD
	v_sub_u32_sdwa v1, v121, v114 dst_sel:DWORD dst_unused:UNUSED_PAD src0_sel:BYTE_0 src1_sel:DWORD
	v_cvt_f32_i32_e32 v0, v0
	v_cvt_f32_i32_e32 v1, v1
	v_cvt_f16_f32_e32 v0, v0
	v_cvt_f16_f32_e32 v1, v1
	v_cvt_f32_f16_e32 v0, v0
	v_cvt_f32_f16_e32 v1, v1
	s_waitcnt vmcnt(0)
	v_pk_fma_f32 v[8:9], v[0:1], v[8:9], v[22:23] op_sel_hi:[1,0,1]
	buffer_load_dword v22, off, s[28:31], 0 offset:96 ; 4-byte Folded Reload
	buffer_load_dword v23, off, s[28:31], 0 offset:100 ; 4-byte Folded Reload
	s_waitcnt vmcnt(0)
	v_pk_fma_f32 v[4:5], v[0:1], v[4:5], v[22:23] op_sel_hi:[1,0,1]
	buffer_load_dword v22, off, s[28:31], 0 offset:104 ; 4-byte Folded Reload
	buffer_load_dword v23, off, s[28:31], 0 offset:108 ; 4-byte Folded Reload
	;; [unrolled: 4-line block ×6, first 2 shown]
	buffer_load_dword v26, off, s[28:31], 0 offset:144 ; 4-byte Folded Reload
	buffer_load_dword v27, off, s[28:31], 0 offset:148 ; 4-byte Folded Reload
	s_waitcnt vmcnt(2)
	v_pk_fma_f32 v[24:25], v[0:1], v[28:29], v[24:25] op_sel_hi:[1,0,1]
	s_waitcnt vmcnt(0)
	v_pk_fma_f32 v[26:27], v[0:1], v[32:33], v[26:27] op_sel_hi:[1,0,1]
	v_sub_u32_sdwa v0, v119, v117 dst_sel:DWORD dst_unused:UNUSED_PAD src0_sel:BYTE_1 src1_sel:DWORD
	v_sub_u32_sdwa v1, v118, v112 dst_sel:DWORD dst_unused:UNUSED_PAD src0_sel:BYTE_1 src1_sel:DWORD
	v_cvt_f32_i32_e32 v0, v0
	v_cvt_f32_i32_e32 v1, v1
	v_cvt_f32_f16_sdwa v32, v92 dst_sel:DWORD dst_unused:UNUSED_PAD src0_sel:WORD_1
	v_cvt_f16_f32_e32 v0, v0
	v_cvt_f16_f32_e32 v28, v1
	v_cvt_f32_f16_e32 v1, v0
	v_cvt_f32_f16_e32 v0, v28
	v_cvt_f32_f16_sdwa v28, v96 dst_sel:DWORD dst_unused:UNUSED_PAD src0_sel:WORD_1
	v_pk_fma_f32 v[110:111], v[0:1], v[32:33], v[110:111] op_sel_hi:[1,0,1]
	v_pk_fma_f32 v[124:125], v[0:1], v[28:29], v[124:125] op_sel_hi:[1,0,1]
	v_sub_u32_sdwa v29, v121, v114 dst_sel:DWORD dst_unused:UNUSED_PAD src0_sel:BYTE_1 src1_sel:DWORD
	v_cvt_f32_i32_e32 v29, v29
	v_pk_fma_f32 v[18:19], v[0:1], v[36:37], v[18:19] op_sel_hi:[1,0,1]
	v_pk_fma_f32 v[2:3], v[0:1], v[40:41], v[2:3] op_sel_hi:[1,0,1]
	v_pk_fma_f32 v[6:7], v[0:1], v[44:45], v[6:7] op_sel_hi:[1,0,1]
	v_cvt_f16_f32_e32 v29, v29
	v_pk_fma_f32 v[10:11], v[0:1], v[48:49], v[10:11] op_sel_hi:[1,0,1]
	v_pk_fma_f32 v[14:15], v[0:1], v[52:53], v[14:15] op_sel_hi:[1,0,1]
	;; [unrolled: 1-line block ×3, first 2 shown]
	v_cvt_f32_f16_e32 v83, v29
	v_cvt_f32_f16_e32 v82, v60
	;; [unrolled: 1-line block ×3, first 2 shown]
	v_pk_fma_f32 v[4:5], v[82:83], v[28:29], v[4:5] op_sel_hi:[1,0,1]
	v_sub_u32_sdwa v28, v119, v117 dst_sel:DWORD dst_unused:UNUSED_PAD src0_sel:BYTE_2 src1_sel:DWORD
	v_sub_u32_sdwa v29, v118, v112 dst_sel:DWORD dst_unused:UNUSED_PAD src0_sel:BYTE_2 src1_sel:DWORD
	v_cvt_f32_i32_e32 v28, v28
	v_cvt_f32_i32_e32 v29, v29
	v_pk_fma_f32 v[8:9], v[82:83], v[32:33], v[8:9] op_sel_hi:[1,0,1]
	v_pk_fma_f32 v[12:13], v[82:83], v[36:37], v[12:13] op_sel_hi:[1,0,1]
	v_cvt_f16_f32_e32 v28, v28
	v_cvt_f16_f32_e32 v32, v29
	v_pk_fma_f32 v[16:17], v[82:83], v[40:41], v[16:17] op_sel_hi:[1,0,1]
	v_pk_fma_f32 v[20:21], v[82:83], v[44:45], v[20:21] op_sel_hi:[1,0,1]
	;; [unrolled: 1-line block ×5, first 2 shown]
	v_cvt_f32_f16_e32 v29, v28
	v_cvt_f32_f16_e32 v28, v32
	;; [unrolled: 1-line block ×9, first 2 shown]
	v_pk_fma_f32 v[82:83], v[28:29], v[32:33], v[124:125] op_sel_hi:[1,0,1]
	v_pk_fma_f32 v[110:111], v[28:29], v[36:37], v[110:111] op_sel_hi:[1,0,1]
	;; [unrolled: 1-line block ×8, first 2 shown]
	v_sub_u32_sdwa v28, v121, v114 dst_sel:DWORD dst_unused:UNUSED_PAD src0_sel:BYTE_2 src1_sel:DWORD
	v_sub_u32_sdwa v29, v120, v116 dst_sel:DWORD dst_unused:UNUSED_PAD src0_sel:BYTE_2 src1_sel:DWORD
	v_cvt_f32_i32_e32 v28, v28
	v_cvt_f32_i32_e32 v29, v29
	v_cvt_f16_f32_e32 v28, v28
	v_cvt_f16_f32_e32 v64, v29
	v_cvt_f32_f16_e32 v29, v28
	v_cvt_f32_f16_e32 v28, v64
	v_sub_u32_sdwa v64, v121, v114 dst_sel:DWORD dst_unused:UNUSED_PAD src0_sel:BYTE_3 src1_sel:DWORD
	v_pk_fma_f32 v[8:9], v[28:29], v[36:37], v[8:9] op_sel_hi:[1,0,1]
	v_pk_fma_f32 v[4:5], v[28:29], v[32:33], v[4:5] op_sel_hi:[1,0,1]
	;; [unrolled: 1-line block ×8, first 2 shown]
	v_sub_u32_sdwa v29, v119, v117 dst_sel:DWORD dst_unused:UNUSED_PAD src0_sel:BYTE_3 src1_sel:DWORD
	v_sub_u32_sdwa v60, v118, v112 dst_sel:DWORD dst_unused:UNUSED_PAD src0_sel:BYTE_3 src1_sel:DWORD
	v_cvt_f32_i32_e32 v29, v29
	v_cvt_f32_i32_e32 v60, v60
	v_cvt_f32_f16_sdwa v28, v97 dst_sel:DWORD dst_unused:UNUSED_PAD src0_sel:WORD_1
	v_cvt_f32_f16_sdwa v32, v69 dst_sel:DWORD dst_unused:UNUSED_PAD src0_sel:WORD_1
	v_cvt_f16_f32_e32 v29, v29
	v_cvt_f16_f32_e32 v60, v60
	v_cvt_f32_f16_sdwa v36, v73 dst_sel:DWORD dst_unused:UNUSED_PAD src0_sel:WORD_1
	v_cvt_f32_f16_sdwa v56, v93 dst_sel:DWORD dst_unused:UNUSED_PAD src0_sel:WORD_1
	v_cvt_f32_f16_e32 v69, v29
	v_cvt_f32_f16_e32 v68, v60
	v_cvt_f32_f16_sdwa v40, v77 dst_sel:DWORD dst_unused:UNUSED_PAD src0_sel:WORD_1
	v_cvt_f32_f16_sdwa v44, v81 dst_sel:DWORD dst_unused:UNUSED_PAD src0_sel:WORD_1
	;; [unrolled: 1-line block ×3, first 2 shown]
	v_pk_fma_f32 v[76:77], v[68:69], v[28:29], v[82:83] op_sel_hi:[1,0,1]
	buffer_store_dword v76, off, s[28:31], 0 offset:176 ; 4-byte Folded Spill
	s_nop 0
	buffer_store_dword v77, off, s[28:31], 0 offset:180 ; 4-byte Folded Spill
	v_pk_fma_f32 v[76:77], v[68:69], v[56:57], v[110:111] op_sel_hi:[1,0,1]
	v_pk_fma_f32 v[18:19], v[68:69], v[32:33], v[18:19] op_sel_hi:[1,0,1]
	;; [unrolled: 1-line block ×3, first 2 shown]
	buffer_store_dword v76, off, s[28:31], 0 offset:184 ; 4-byte Folded Spill
	s_nop 0
	buffer_store_dword v77, off, s[28:31], 0 offset:188 ; 4-byte Folded Spill
	buffer_store_dword v18, off, s[28:31], 0 offset:168 ; 4-byte Folded Spill
	s_nop 0
	buffer_store_dword v19, off, s[28:31], 0 offset:172 ; 4-byte Folded Spill
	;; [unrolled: 3-line block ×3, first 2 shown]
	v_cvt_f32_f16_sdwa v52, v89 dst_sel:DWORD dst_unused:UNUSED_PAD src0_sel:WORD_1
	v_pk_fma_f32 v[2:3], v[68:69], v[40:41], v[6:7] op_sel_hi:[1,0,1]
	buffer_store_dword v2, off, s[28:31], 0 offset:152 ; 4-byte Folded Spill
	s_nop 0
	buffer_store_dword v3, off, s[28:31], 0 offset:156 ; 4-byte Folded Spill
	v_pk_fma_f32 v[2:3], v[68:69], v[44:45], v[10:11] op_sel_hi:[1,0,1]
	buffer_store_dword v2, off, s[28:31], 0 offset:144 ; 4-byte Folded Spill
	s_nop 0
	buffer_store_dword v3, off, s[28:31], 0 offset:148 ; 4-byte Folded Spill
	v_pk_fma_f32 v[2:3], v[68:69], v[48:49], v[14:15] op_sel_hi:[1,0,1]
	v_pk_fma_f32 v[0:1], v[68:69], v[52:53], v[0:1] op_sel_hi:[1,0,1]
	buffer_store_dword v2, off, s[28:31], 0 offset:136 ; 4-byte Folded Spill
	s_nop 0
	buffer_store_dword v3, off, s[28:31], 0 offset:140 ; 4-byte Folded Spill
	buffer_store_dword v0, off, s[28:31], 0 offset:128 ; 4-byte Folded Spill
	s_nop 0
	buffer_store_dword v1, off, s[28:31], 0 offset:132 ; 4-byte Folded Spill
	v_cvt_f32_i32_e32 v0, v64
	v_cvt_f32_i32_e32 v1, v72
	v_sub_u32_sdwa v7, v101, v114 dst_sel:DWORD dst_unused:UNUSED_PAD src0_sel:BYTE_3 src1_sel:DWORD
	v_sub_u32_sdwa v60, v105, v114 dst_sel:DWORD dst_unused:UNUSED_PAD src0_sel:BYTE_3 src1_sel:DWORD
	v_cvt_f16_f32_e32 v0, v0
	v_cvt_f16_f32_e32 v2, v1
	v_cvt_f32_f16_e32 v64, v62
	v_cvt_f32_f16_e32 v1, v0
	;; [unrolled: 1-line block ×3, first 2 shown]
	v_pk_fma_f32 v[2:3], v[0:1], v[56:57], v[8:9] op_sel_hi:[1,0,1]
	buffer_store_dword v2, off, s[28:31], 0 offset:120 ; 4-byte Folded Spill
	s_nop 0
	buffer_store_dword v3, off, s[28:31], 0 offset:124 ; 4-byte Folded Spill
	v_pk_fma_f32 v[2:3], v[0:1], v[28:29], v[4:5] op_sel_hi:[1,0,1]
	buffer_store_dword v2, off, s[28:31], 0 offset:112 ; 4-byte Folded Spill
	s_nop 0
	buffer_store_dword v3, off, s[28:31], 0 offset:116 ; 4-byte Folded Spill
	;; [unrolled: 4-line block ×6, first 2 shown]
	v_pk_fma_f32 v[2:3], v[0:1], v[48:49], v[24:25] op_sel_hi:[1,0,1]
	v_pk_fma_f32 v[0:1], v[0:1], v[52:53], v[26:27] op_sel_hi:[1,0,1]
	buffer_store_dword v2, off, s[28:31], 0 offset:72 ; 4-byte Folded Spill
	s_nop 0
	buffer_store_dword v3, off, s[28:31], 0 offset:76 ; 4-byte Folded Spill
	buffer_store_dword v0, off, s[28:31], 0 offset:64 ; 4-byte Folded Spill
	s_nop 0
	buffer_store_dword v1, off, s[28:31], 0 offset:68 ; 4-byte Folded Spill
	v_sub_u32_sdwa v0, v98, v112 dst_sel:DWORD dst_unused:UNUSED_PAD src0_sel:BYTE_3 src1_sel:DWORD
	v_sub_u32_sdwa v1, v99, v117 dst_sel:DWORD dst_unused:UNUSED_PAD src0_sel:BYTE_3 src1_sel:DWORD
	v_cvt_f32_i32_e32 v1, v1
	v_cvt_f32_i32_e32 v0, v0
	v_cvt_f32_f16_sdwa v4, v33 dst_sel:DWORD dst_unused:UNUSED_PAD src0_sel:WORD_1
	v_sub_u32_sdwa v5, v100, v116 dst_sel:DWORD dst_unused:UNUSED_PAD src0_sel:BYTE_3 src1_sel:DWORD
	v_cvt_f16_f32_e32 v1, v1
	v_cvt_f16_f32_e32 v0, v0
	buffer_load_dword v72, off, s[28:31], 0 offset:488 ; 4-byte Folded Reload
	buffer_load_dword v73, off, s[28:31], 0 offset:492 ; 4-byte Folded Reload
	;; [unrolled: 1-line block ×4, first 2 shown]
	v_cvt_f32_f16_sdwa v32, v107 dst_sel:DWORD dst_unused:UNUSED_PAD src0_sel:WORD_1
	v_cvt_f32_f16_e32 v3, v1
	v_cvt_f32_f16_e32 v2, v0
	;; [unrolled: 1-line block ×3, first 2 shown]
	v_cvt_f32_f16_sdwa v52, v61 dst_sel:DWORD dst_unused:UNUSED_PAD src0_sel:WORD_1
	v_sub_u32_sdwa v56, v104, v116 dst_sel:DWORD dst_unused:UNUSED_PAD src0_sel:BYTE_3 src1_sel:DWORD
	v_pk_fma_f32 v[0:1], v[2:3], v[4:5], v[78:79] op_sel_hi:[1,0,1]
	buffer_load_dword v76, off, s[28:31], 0 offset:240 ; 4-byte Folded Reload
	buffer_load_dword v77, off, s[28:31], 0 offset:244 ; 4-byte Folded Reload
	buffer_load_dword v78, off, s[28:31], 0 offset:248 ; 4-byte Folded Reload
	buffer_load_dword v79, off, s[28:31], 0 offset:252 ; 4-byte Folded Reload
	buffer_load_dword v8, off, s[28:31], 0 offset:192 ; 4-byte Folded Reload
	buffer_load_dword v9, off, s[28:31], 0 offset:196 ; 4-byte Folded Reload
	buffer_load_dword v80, off, s[28:31], 0 offset:256 ; 4-byte Folded Reload
	buffer_load_dword v81, off, s[28:31], 0 offset:260 ; 4-byte Folded Reload
	buffer_load_dword v82, off, s[28:31], 0 offset:264 ; 4-byte Folded Reload
	buffer_load_dword v83, off, s[28:31], 0 offset:268 ; 4-byte Folded Reload
	s_waitcnt vmcnt(12)
	v_cvt_f32_f16_sdwa v6, v73 dst_sel:DWORD dst_unused:UNUSED_PAD src0_sel:WORD_1
	v_pk_fma_f32 v[68:69], v[2:3], v[6:7], v[122:123] op_sel_hi:[1,0,1]
	s_waitcnt vmcnt(8)
	v_cvt_f32_f16_sdwa v10, v77 dst_sel:DWORD dst_unused:UNUSED_PAD src0_sel:WORD_1
	s_waitcnt vmcnt(2)
	v_cvt_f32_f16_sdwa v14, v81 dst_sel:DWORD dst_unused:UNUSED_PAD src0_sel:WORD_1
	v_pk_fma_f32 v[72:73], v[2:3], v[10:11], v[8:9] op_sel_hi:[1,0,1]
	buffer_load_dword v8, off, s[28:31], 0 offset:200 ; 4-byte Folded Reload
	buffer_load_dword v9, off, s[28:31], 0 offset:204 ; 4-byte Folded Reload
	;; [unrolled: 1-line block ×6, first 2 shown]
	s_waitcnt vmcnt(4)
	v_pk_fma_f32 v[96:97], v[2:3], v[14:15], v[8:9] op_sel_hi:[1,0,1]
	buffer_load_dword v8, off, s[28:31], 0 offset:208 ; 4-byte Folded Reload
	buffer_load_dword v9, off, s[28:31], 0 offset:212 ; 4-byte Folded Reload
	s_waitcnt vmcnt(4)
	v_cvt_f32_f16_sdwa v18, v99 dst_sel:DWORD dst_unused:UNUSED_PAD src0_sel:WORD_1
	buffer_load_dword v118, off, s[28:31], 0 offset:288 ; 4-byte Folded Reload
	buffer_load_dword v119, off, s[28:31], 0 offset:292 ; 4-byte Folded Reload
	;; [unrolled: 1-line block ×4, first 2 shown]
	v_pk_mov_b32 v[98:99], v[74:75], v[74:75] op_sel:[0,1]
	s_waitcnt vmcnt(4)
	v_pk_fma_f32 v[76:77], v[2:3], v[18:19], v[8:9] op_sel_hi:[1,0,1]
	buffer_load_dword v8, off, s[28:31], 0 offset:216 ; 4-byte Folded Reload
	buffer_load_dword v9, off, s[28:31], 0 offset:220 ; 4-byte Folded Reload
	s_waitcnt vmcnt(4)
	v_cvt_f32_f16_sdwa v22, v119 dst_sel:DWORD dst_unused:UNUSED_PAD src0_sel:WORD_1
	buffer_load_dword v122, off, s[28:31], 0 offset:304 ; 4-byte Folded Reload
	buffer_load_dword v123, off, s[28:31], 0 offset:308 ; 4-byte Folded Reload
	;; [unrolled: 1-line block ×4, first 2 shown]
	s_waitcnt vmcnt(4)
	v_pk_fma_f32 v[80:81], v[2:3], v[22:23], v[8:9] op_sel_hi:[1,0,1]
	buffer_load_dword v8, off, s[28:31], 0 offset:224 ; 4-byte Folded Reload
	buffer_load_dword v9, off, s[28:31], 0 offset:228 ; 4-byte Folded Reload
	s_waitcnt vmcnt(4)
	v_cvt_f32_f16_sdwa v26, v123 dst_sel:DWORD dst_unused:UNUSED_PAD src0_sel:WORD_1
	s_waitcnt vmcnt(0)
	v_pk_fma_f32 v[84:85], v[2:3], v[26:27], v[8:9] op_sel_hi:[1,0,1]
	buffer_load_dword v8, off, s[28:31], 0 offset:232 ; 4-byte Folded Reload
	buffer_load_dword v9, off, s[28:31], 0 offset:236 ; 4-byte Folded Reload
	s_waitcnt vmcnt(0)
	v_pk_fma_f32 v[88:89], v[2:3], v[32:33], v[8:9] op_sel_hi:[1,0,1]
	v_cvt_f32_i32_e32 v2, v5
	v_cvt_f32_i32_e32 v3, v7
	v_cvt_f16_f32_e32 v2, v2
	v_cvt_f16_f32_e32 v3, v3
	v_cvt_f32_f16_e32 v2, v2
	v_cvt_f32_f16_e32 v3, v3
	v_pk_fma_f32 v[8:9], v[2:3], v[6:7], v[94:95] op_sel_hi:[1,0,1]
	buffer_load_dword v6, off, s[28:31], 0 offset:320 ; 4-byte Folded Reload
	buffer_load_dword v7, off, s[28:31], 0 offset:324 ; 4-byte Folded Reload
	v_pk_fma_f32 v[32:33], v[2:3], v[32:33], v[90:91] op_sel_hi:[1,0,1]
	v_pk_fma_f32 v[4:5], v[2:3], v[4:5], v[86:87] op_sel_hi:[1,0,1]
	v_pk_mov_b32 v[86:87], v[100:101], v[100:101] op_sel:[0,1]
	v_cvt_f32_f16_e32 v36, v86
	v_pk_mov_b32 v[94:95], v[120:121], v[120:121] op_sel:[0,1]
	v_cvt_f32_f16_e32 v40, v94
	s_waitcnt vmcnt(0)
	v_pk_fma_f32 v[12:13], v[2:3], v[10:11], v[6:7] op_sel_hi:[1,0,1]
	buffer_load_dword v6, off, s[28:31], 0 offset:328 ; 4-byte Folded Reload
	buffer_load_dword v7, off, s[28:31], 0 offset:332 ; 4-byte Folded Reload
	s_waitcnt vmcnt(0)
	v_pk_fma_f32 v[16:17], v[2:3], v[14:15], v[6:7] op_sel_hi:[1,0,1]
	buffer_load_dword v6, off, s[28:31], 0 offset:336 ; 4-byte Folded Reload
	buffer_load_dword v7, off, s[28:31], 0 offset:340 ; 4-byte Folded Reload
	v_cvt_f32_f16_e32 v14, v34
	s_waitcnt vmcnt(0)
	v_pk_fma_f32 v[20:21], v[2:3], v[18:19], v[6:7] op_sel_hi:[1,0,1]
	buffer_load_dword v6, off, s[28:31], 0 offset:344 ; 4-byte Folded Reload
	buffer_load_dword v7, off, s[28:31], 0 offset:348 ; 4-byte Folded Reload
	v_cvt_f32_f16_e32 v18, v78
	s_waitcnt vmcnt(0)
	v_pk_fma_f32 v[24:25], v[2:3], v[22:23], v[6:7] op_sel_hi:[1,0,1]
	buffer_load_dword v6, off, s[28:31], 0 offset:480 ; 4-byte Folded Reload
	buffer_load_dword v7, off, s[28:31], 0 offset:484 ; 4-byte Folded Reload
	global_load_dwordx4 v[90:93], v[30:31], off
	s_waitcnt vmcnt(1)
	v_pk_fma_f32 v[28:29], v[2:3], v[26:27], v[6:7] op_sel_hi:[1,0,1]
	s_waitcnt vmcnt(0)
	v_sub_u32_sdwa v2, v91, v117 dst_sel:DWORD dst_unused:UNUSED_PAD src0_sel:BYTE_0 src1_sel:DWORD
	v_sub_u32_sdwa v3, v90, v112 dst_sel:DWORD dst_unused:UNUSED_PAD src0_sel:BYTE_0 src1_sel:DWORD
	v_cvt_f32_i32_e32 v2, v2
	v_cvt_f32_i32_e32 v3, v3
	v_cvt_f32_f16_e32 v26, v82
	v_cvt_f16_f32_e32 v2, v2
	v_cvt_f16_f32_e32 v6, v3
	v_cvt_f32_f16_e32 v3, v2
	v_cvt_f32_f16_e32 v2, v6
	;; [unrolled: 1-line block ×3, first 2 shown]
	v_pk_fma_f32 v[0:1], v[2:3], v[14:15], v[0:1] op_sel_hi:[1,0,1]
	v_pk_fma_f32 v[10:11], v[2:3], v[6:7], v[68:69] op_sel_hi:[1,0,1]
	v_sub_u32_sdwa v7, v93, v114 dst_sel:DWORD dst_unused:UNUSED_PAD src0_sel:BYTE_0 src1_sel:DWORD
	v_sub_u32_sdwa v15, v92, v116 dst_sel:DWORD dst_unused:UNUSED_PAD src0_sel:BYTE_0 src1_sel:DWORD
	v_cvt_f32_i32_e32 v7, v7
	v_cvt_f32_i32_e32 v15, v15
	v_pk_fma_f32 v[68:69], v[2:3], v[36:37], v[76:77] op_sel_hi:[1,0,1]
	v_pk_fma_f32 v[30:31], v[2:3], v[26:27], v[96:97] op_sel_hi:[1,0,1]
	v_cvt_f16_f32_e32 v7, v7
	v_cvt_f16_f32_e32 v15, v15
	v_pk_mov_b32 v[96:97], v[124:125], v[124:125] op_sel:[0,1]
	v_cvt_f32_f16_e32 v44, v96
	v_cvt_f32_f16_e32 v77, v7
	;; [unrolled: 1-line block ×3, first 2 shown]
	v_pk_fma_f32 v[22:23], v[2:3], v[18:19], v[72:73] op_sel_hi:[1,0,1]
	v_pk_fma_f32 v[72:73], v[2:3], v[40:41], v[80:81] op_sel_hi:[1,0,1]
	;; [unrolled: 1-line block ×7, first 2 shown]
	v_sub_u32_sdwa v24, v91, v117 dst_sel:DWORD dst_unused:UNUSED_PAD src0_sel:BYTE_1 src1_sel:DWORD
	v_sub_u32_sdwa v25, v90, v112 dst_sel:DWORD dst_unused:UNUSED_PAD src0_sel:BYTE_1 src1_sel:DWORD
	v_cvt_f32_i32_e32 v24, v24
	v_cvt_f32_i32_e32 v25, v25
	v_pk_fma_f32 v[18:19], v[76:77], v[44:45], v[28:29] op_sel_hi:[1,0,1]
	v_pk_mov_b32 v[28:29], v[98:99], v[98:99] op_sel:[0,1]
	v_cvt_f16_f32_e32 v24, v24
	v_cvt_f16_f32_e32 v26, v25
	v_pk_fma_f32 v[2:3], v[2:3], v[48:49], v[88:89] op_sel_hi:[1,0,1]
	v_pk_fma_f32 v[4:5], v[76:77], v[14:15], v[4:5] op_sel_hi:[1,0,1]
	;; [unrolled: 1-line block ×4, first 2 shown]
	v_cvt_f32_f16_e32 v25, v24
	v_cvt_f32_f16_e32 v24, v26
	v_cvt_f32_f16_sdwa v26, v28 dst_sel:DWORD dst_unused:UNUSED_PAD src0_sel:WORD_1
	v_cvt_f32_f16_sdwa v28, v34 dst_sel:DWORD dst_unused:UNUSED_PAD src0_sel:WORD_1
	;; [unrolled: 1-line block ×8, first 2 shown]
	v_pk_fma_f32 v[10:11], v[24:25], v[26:27], v[10:11] op_sel_hi:[1,0,1]
	v_pk_fma_f32 v[0:1], v[24:25], v[28:29], v[0:1] op_sel_hi:[1,0,1]
	;; [unrolled: 1-line block ×8, first 2 shown]
	v_sub_u32_sdwa v24, v93, v114 dst_sel:DWORD dst_unused:UNUSED_PAD src0_sel:BYTE_1 src1_sel:DWORD
	v_sub_u32_sdwa v25, v92, v116 dst_sel:DWORD dst_unused:UNUSED_PAD src0_sel:BYTE_1 src1_sel:DWORD
	v_cvt_f32_i32_e32 v24, v24
	v_cvt_f32_i32_e32 v25, v25
	v_mov_b32_e32 v81, v79
	v_mov_b32_e32 v77, v29
	v_cvt_f16_f32_e32 v24, v24
	v_cvt_f16_f32_e32 v27, v25
	v_cvt_f32_f16_e32 v25, v24
	v_cvt_f32_f16_e32 v24, v27
	v_pk_fma_f32 v[4:5], v[24:25], v[28:29], v[4:5] op_sel_hi:[1,0,1]
	v_pk_fma_f32 v[6:7], v[24:25], v[26:27], v[6:7] op_sel_hi:[1,0,1]
	;; [unrolled: 1-line block ×8, first 2 shown]
	v_sub_u32_sdwa v24, v91, v117 dst_sel:DWORD dst_unused:UNUSED_PAD src0_sel:BYTE_2 src1_sel:DWORD
	v_sub_u32_sdwa v25, v90, v112 dst_sel:DWORD dst_unused:UNUSED_PAD src0_sel:BYTE_2 src1_sel:DWORD
	v_cvt_f32_i32_e32 v24, v24
	v_cvt_f32_i32_e32 v25, v25
	v_cvt_f32_f16_e32 v28, v35
	v_cvt_f32_f16_e32 v32, v81
	v_cvt_f16_f32_e32 v24, v24
	v_cvt_f16_f32_e32 v26, v25
	v_cvt_f32_f16_e32 v34, v83
	v_cvt_f32_f16_e32 v36, v87
	;; [unrolled: 1-line block ×8, first 2 shown]
	v_pk_fma_f32 v[10:11], v[24:25], v[26:27], v[10:11] op_sel_hi:[1,0,1]
	v_pk_fma_f32 v[0:1], v[24:25], v[28:29], v[0:1] op_sel_hi:[1,0,1]
	;; [unrolled: 1-line block ×8, first 2 shown]
	v_sub_u32_sdwa v24, v93, v114 dst_sel:DWORD dst_unused:UNUSED_PAD src0_sel:BYTE_2 src1_sel:DWORD
	v_sub_u32_sdwa v25, v92, v116 dst_sel:DWORD dst_unused:UNUSED_PAD src0_sel:BYTE_2 src1_sel:DWORD
	v_cvt_f32_i32_e32 v24, v24
	v_cvt_f32_i32_e32 v25, v25
	v_cvt_f16_f32_e32 v24, v24
	v_cvt_f16_f32_e32 v27, v25
	v_cvt_f32_f16_e32 v25, v24
	v_cvt_f32_f16_e32 v24, v27
	v_pk_fma_f32 v[4:5], v[24:25], v[28:29], v[4:5] op_sel_hi:[1,0,1]
	v_pk_fma_f32 v[6:7], v[24:25], v[26:27], v[6:7] op_sel_hi:[1,0,1]
	;; [unrolled: 1-line block ×8, first 2 shown]
	v_sub_u32_sdwa v25, v91, v117 dst_sel:DWORD dst_unused:UNUSED_PAD src0_sel:BYTE_3 src1_sel:DWORD
	v_sub_u32_sdwa v27, v90, v112 dst_sel:DWORD dst_unused:UNUSED_PAD src0_sel:BYTE_3 src1_sel:DWORD
	v_cvt_f32_i32_e32 v25, v25
	v_cvt_f32_i32_e32 v27, v27
	v_cvt_f32_f16_sdwa v24, v77 dst_sel:DWORD dst_unused:UNUSED_PAD src0_sel:WORD_1
	v_cvt_f32_f16_sdwa v28, v83 dst_sel:DWORD dst_unused:UNUSED_PAD src0_sel:WORD_1
	v_cvt_f16_f32_e32 v25, v25
	v_cvt_f16_f32_e32 v27, v27
	v_cvt_f32_f16_sdwa v44, v35 dst_sel:DWORD dst_unused:UNUSED_PAD src0_sel:WORD_1
	v_cvt_f32_f16_sdwa v26, v81 dst_sel:DWORD dst_unused:UNUSED_PAD src0_sel:WORD_1
	v_cvt_f32_f16_e32 v83, v25
	v_cvt_f32_f16_e32 v82, v27
	v_cvt_f32_f16_sdwa v34, v95 dst_sel:DWORD dst_unused:UNUSED_PAD src0_sel:WORD_1
	v_sub_u32_sdwa v29, v93, v114 dst_sel:DWORD dst_unused:UNUSED_PAD src0_sel:BYTE_3 src1_sel:DWORD
	v_cvt_f32_f16_sdwa v36, v97 dst_sel:DWORD dst_unused:UNUSED_PAD src0_sel:WORD_1
	v_pk_fma_f32 v[10:11], v[82:83], v[24:25], v[10:11] op_sel_hi:[1,0,1]
	v_pk_fma_f32 v[0:1], v[82:83], v[44:45], v[0:1] op_sel_hi:[1,0,1]
	buffer_store_dword v10, off, s[28:31], 0 offset:336 ; 4-byte Folded Spill
	s_nop 0
	buffer_store_dword v11, off, s[28:31], 0 offset:340 ; 4-byte Folded Spill
	buffer_store_dword v0, off, s[28:31], 0 offset:344 ; 4-byte Folded Spill
	s_nop 0
	buffer_store_dword v1, off, s[28:31], 0 offset:348 ; 4-byte Folded Spill
	v_pk_fma_f32 v[0:1], v[82:83], v[26:27], v[22:23] op_sel_hi:[1,0,1]
	buffer_store_dword v0, off, s[28:31], 0 offset:328 ; 4-byte Folded Spill
	s_nop 0
	buffer_store_dword v1, off, s[28:31], 0 offset:332 ; 4-byte Folded Spill
	v_pk_fma_f32 v[0:1], v[82:83], v[28:29], v[30:31] op_sel_hi:[1,0,1]
	buffer_store_dword v0, off, s[28:31], 0 offset:320 ; 4-byte Folded Spill
	s_nop 0
	buffer_store_dword v1, off, s[28:31], 0 offset:324 ; 4-byte Folded Spill
	v_cvt_f32_f16_sdwa v40, v109 dst_sel:DWORD dst_unused:UNUSED_PAD src0_sel:WORD_1
	v_pk_fma_f32 v[0:1], v[82:83], v[34:35], v[78:79] op_sel_hi:[1,0,1]
	buffer_store_dword v0, off, s[28:31], 0 offset:304 ; 4-byte Folded Spill
	s_nop 0
	buffer_store_dword v1, off, s[28:31], 0 offset:308 ; 4-byte Folded Spill
	v_pk_fma_f32 v[0:1], v[82:83], v[36:37], v[74:75] op_sel_hi:[1,0,1]
	buffer_store_dword v0, off, s[28:31], 0 offset:288 ; 4-byte Folded Spill
	s_nop 0
	buffer_store_dword v1, off, s[28:31], 0 offset:292 ; 4-byte Folded Spill
	v_pk_fma_f32 v[0:1], v[82:83], v[40:41], v[2:3] op_sel_hi:[1,0,1]
	v_sub_u32_sdwa v33, v92, v116 dst_sel:DWORD dst_unused:UNUSED_PAD src0_sel:BYTE_3 src1_sel:DWORD
	buffer_store_dword v0, off, s[28:31], 0 offset:272 ; 4-byte Folded Spill
	s_nop 0
	buffer_store_dword v1, off, s[28:31], 0 offset:276 ; 4-byte Folded Spill
	v_cvt_f32_i32_e32 v0, v29
	v_cvt_f32_i32_e32 v1, v33
	v_cvt_f32_f16_sdwa v32, v87 dst_sel:DWORD dst_unused:UNUSED_PAD src0_sel:WORD_1
	v_cvt_f32_f16_e32 v30, v61
	v_cvt_f16_f32_e32 v0, v0
	v_cvt_f16_f32_e32 v2, v1
	v_pk_fma_f32 v[100:101], v[82:83], v[32:33], v[68:69] op_sel_hi:[1,0,1]
	v_cvt_f32_f16_e32 v10, v65
	v_cvt_f32_f16_e32 v1, v0
	;; [unrolled: 1-line block ×3, first 2 shown]
	v_cvt_f32_f16_sdwa v48, v57 dst_sel:DWORD dst_unused:UNUSED_PAD src0_sel:WORD_1
	v_pk_fma_f32 v[2:3], v[0:1], v[44:45], v[4:5] op_sel_hi:[1,0,1]
	buffer_store_dword v2, off, s[28:31], 0 offset:256 ; 4-byte Folded Spill
	s_nop 0
	buffer_store_dword v3, off, s[28:31], 0 offset:260 ; 4-byte Folded Spill
	v_pk_fma_f32 v[2:3], v[0:1], v[24:25], v[6:7] op_sel_hi:[1,0,1]
	buffer_store_dword v2, off, s[28:31], 0 offset:240 ; 4-byte Folded Spill
	s_nop 0
	buffer_store_dword v3, off, s[28:31], 0 offset:244 ; 4-byte Folded Spill
	;; [unrolled: 4-line block ×6, first 2 shown]
	v_pk_fma_f32 v[2:3], v[0:1], v[36:37], v[18:19] op_sel_hi:[1,0,1]
	v_pk_fma_f32 v[0:1], v[0:1], v[40:41], v[20:21] op_sel_hi:[1,0,1]
	buffer_store_dword v2, off, s[28:31], 0 offset:200 ; 4-byte Folded Spill
	s_nop 0
	buffer_store_dword v3, off, s[28:31], 0 offset:204 ; 4-byte Folded Spill
	buffer_store_dword v0, off, s[28:31], 0 offset:192 ; 4-byte Folded Spill
	s_nop 0
	buffer_store_dword v1, off, s[28:31], 0 offset:196 ; 4-byte Folded Spill
	buffer_load_dword v4, off, s[28:31], 0 offset:376 ; 4-byte Folded Reload
	buffer_load_dword v5, off, s[28:31], 0 offset:380 ; 4-byte Folded Reload
	;; [unrolled: 1-line block ×16, first 2 shown]
	v_sub_u32_sdwa v0, v103, v117 dst_sel:DWORD dst_unused:UNUSED_PAD src0_sel:BYTE_2 src1_sel:DWORD
	v_sub_u32_sdwa v1, v102, v112 dst_sel:DWORD dst_unused:UNUSED_PAD src0_sel:BYTE_2 src1_sel:DWORD
	v_cvt_f32_i32_e32 v0, v0
	v_cvt_f32_i32_e32 v1, v1
	v_cvt_f32_f16_e32 v18, v49
	v_cvt_f32_f16_e32 v6, v37
	v_cvt_f16_f32_e32 v0, v0
	v_cvt_f16_f32_e32 v2, v1
	v_cvt_f32_f16_e32 v14, v41
	v_cvt_f32_f16_sdwa v36, v45 dst_sel:DWORD dst_unused:UNUSED_PAD src0_sel:WORD_1
	v_cvt_f32_f16_e32 v1, v0
	v_cvt_f32_f16_e32 v0, v2
	;; [unrolled: 1-line block ×3, first 2 shown]
	v_cvt_f32_f16_sdwa v40, v37 dst_sel:DWORD dst_unused:UNUSED_PAD src0_sel:WORD_1
	v_cvt_f32_f16_sdwa v44, v53 dst_sel:DWORD dst_unused:UNUSED_PAD src0_sel:WORD_1
	s_waitcnt vmcnt(14)
	v_pk_fma_f32 v[4:5], v[0:1], v[2:3], v[4:5] op_sel_hi:[1,0,1]
	s_waitcnt vmcnt(12)
	v_pk_fma_f32 v[8:9], v[0:1], v[6:7], v[8:9] op_sel_hi:[1,0,1]
	;; [unrolled: 2-line block ×5, first 2 shown]
	v_cvt_f32_f16_e32 v20, v53
	s_waitcnt vmcnt(0)
	v_pk_fma_f32 v[34:35], v[0:1], v[30:31], v[32:33] op_sel_hi:[1,0,1]
	buffer_load_dword v32, off, s[28:31], 0 offset:472 ; 4-byte Folded Reload
	buffer_load_dword v33, off, s[28:31], 0 offset:476 ; 4-byte Folded Reload
	v_pk_fma_f32 v[26:27], v[0:1], v[20:21], v[22:23] op_sel_hi:[1,0,1]
	v_cvt_f32_f16_e32 v22, v57
	v_pk_fma_f32 v[28:29], v[0:1], v[22:23], v[28:29] op_sel_hi:[1,0,1]
	v_sub_u32_sdwa v0, v104, v116 dst_sel:DWORD dst_unused:UNUSED_PAD src0_sel:BYTE_2 src1_sel:DWORD
	v_sub_u32_sdwa v1, v105, v114 dst_sel:DWORD dst_unused:UNUSED_PAD src0_sel:BYTE_2 src1_sel:DWORD
	v_cvt_f32_i32_e32 v0, v0
	v_cvt_f32_i32_e32 v1, v1
	v_cvt_f16_f32_e32 v0, v0
	v_cvt_f16_f32_e32 v1, v1
	v_cvt_f32_f16_e32 v0, v0
	v_cvt_f32_f16_e32 v1, v1
	s_waitcnt vmcnt(0)
	v_pk_fma_f32 v[10:11], v[0:1], v[10:11], v[32:33] op_sel_hi:[1,0,1]
	buffer_load_dword v32, off, s[28:31], 0 offset:408 ; 4-byte Folded Reload
	buffer_load_dword v33, off, s[28:31], 0 offset:412 ; 4-byte Folded Reload
	s_waitcnt vmcnt(0)
	v_pk_fma_f32 v[2:3], v[0:1], v[2:3], v[32:33] op_sel_hi:[1,0,1]
	buffer_load_dword v32, off, s[28:31], 0 offset:416 ; 4-byte Folded Reload
	buffer_load_dword v33, off, s[28:31], 0 offset:420 ; 4-byte Folded Reload
	;; [unrolled: 4-line block ×7, first 2 shown]
	s_waitcnt vmcnt(0)
	v_pk_fma_f32 v[82:83], v[0:1], v[30:31], v[6:7] op_sel_hi:[1,0,1]
	v_sub_u32_sdwa v0, v102, v112 dst_sel:DWORD dst_unused:UNUSED_PAD src0_sel:BYTE_3 src1_sel:DWORD
	v_sub_u32_sdwa v1, v103, v117 dst_sel:DWORD dst_unused:UNUSED_PAD src0_sel:BYTE_3 src1_sel:DWORD
	v_cvt_f32_i32_e32 v1, v1
	v_cvt_f32_i32_e32 v0, v0
	v_cvt_f16_f32_e32 v1, v1
	v_cvt_f16_f32_e32 v0, v0
	v_cvt_f32_f16_e32 v7, v1
	v_cvt_f32_f16_e32 v6, v0
	v_pk_fma_f32 v[20:21], v[6:7], v[36:37], v[4:5] op_sel_hi:[1,0,1]
	v_cvt_f32_f16_sdwa v4, v65 dst_sel:DWORD dst_unused:UNUSED_PAD src0_sel:WORD_1
	v_pk_fma_f32 v[0:1], v[6:7], v[40:41], v[8:9] op_sel_hi:[1,0,1]
	v_pk_fma_f32 v[26:27], v[6:7], v[44:45], v[26:27] op_sel_hi:[1,0,1]
	;; [unrolled: 1-line block ×4, first 2 shown]
	v_cvt_f32_f16_sdwa v12, v41 dst_sel:DWORD dst_unused:UNUSED_PAD src0_sel:WORD_1
	v_pk_fma_f32 v[30:31], v[6:7], v[52:53], v[34:35] op_sel_hi:[1,0,1]
	v_cvt_f32_i32_e32 v5, v60
	v_cvt_f32_f16_e32 v60, v58
	v_pk_fma_f32 v[22:23], v[6:7], v[12:13], v[16:17] op_sel_hi:[1,0,1]
	v_cvt_f32_f16_sdwa v16, v49 dst_sel:DWORD dst_unused:UNUSED_PAD src0_sel:WORD_1
	v_cvt_f16_f32_e32 v5, v5
	v_pk_fma_f32 v[24:25], v[6:7], v[16:17], v[24:25] op_sel_hi:[1,0,1]
	v_cvt_f32_i32_e32 v6, v56
	v_cvt_f32_f16_e32 v35, v5
	v_cvt_f32_f16_e32 v56, v54
	v_cvt_f16_f32_e32 v6, v6
	v_cvt_f32_f16_e32 v34, v6
	v_pk_fma_f32 v[4:5], v[34:35], v[4:5], v[10:11] op_sel_hi:[1,0,1]
	v_pk_fma_f32 v[6:7], v[34:35], v[36:37], v[2:3] op_sel_hi:[1,0,1]
	v_pk_fma_f32 v[8:9], v[34:35], v[40:41], v[68:69] op_sel_hi:[1,0,1]
	v_pk_fma_f32 v[10:11], v[34:35], v[12:13], v[14:15] op_sel_hi:[1,0,1]
	v_pk_fma_f32 v[12:13], v[34:35], v[16:17], v[18:19] op_sel_hi:[1,0,1]
	v_pk_fma_f32 v[14:15], v[34:35], v[44:45], v[74:75] op_sel_hi:[1,0,1]
	v_pk_fma_f32 v[16:17], v[34:35], v[48:49], v[78:79] op_sel_hi:[1,0,1]
	v_pk_fma_f32 v[18:19], v[34:35], v[52:53], v[82:83] op_sel_hi:[1,0,1]
	v_add_co_u32_e32 v34, vcc, s0, v70
	v_addc_co_u32_e32 v35, vcc, v71, v115, vcc
	global_load_dwordx4 v[68:71], v[34:35], off
	v_cvt_f32_f16_e32 v40, v66
	v_cvt_f32_f16_e32 v44, v38
	;; [unrolled: 1-line block ×4, first 2 shown]
	v_cvt_f32_f16_sdwa v38, v38 dst_sel:DWORD dst_unused:UNUSED_PAD src0_sel:WORD_1
	v_cvt_f32_f16_sdwa v42, v42 dst_sel:DWORD dst_unused:UNUSED_PAD src0_sel:WORD_1
	s_waitcnt vmcnt(0)
	v_sub_u32_sdwa v2, v69, v117 dst_sel:DWORD dst_unused:UNUSED_PAD src0_sel:BYTE_0 src1_sel:DWORD
	v_sub_u32_sdwa v3, v68, v112 dst_sel:DWORD dst_unused:UNUSED_PAD src0_sel:BYTE_0 src1_sel:DWORD
	v_cvt_f32_i32_e32 v2, v2
	v_cvt_f32_i32_e32 v3, v3
	v_cvt_f16_f32_e32 v2, v2
	v_cvt_f16_f32_e32 v36, v3
	v_cvt_f32_f16_e32 v3, v2
	v_cvt_f32_f16_e32 v2, v36
	v_cvt_f32_f16_e32 v36, v46
	v_pk_fma_f32 v[32:33], v[2:3], v[40:41], v[32:33] op_sel_hi:[1,0,1]
	v_pk_fma_f32 v[20:21], v[2:3], v[36:37], v[20:21] op_sel_hi:[1,0,1]
	;; [unrolled: 1-line block ×8, first 2 shown]
	v_sub_u32_sdwa v30, v71, v114 dst_sel:DWORD dst_unused:UNUSED_PAD src0_sel:BYTE_0 src1_sel:DWORD
	v_sub_u32_sdwa v31, v70, v116 dst_sel:DWORD dst_unused:UNUSED_PAD src0_sel:BYTE_0 src1_sel:DWORD
	v_cvt_f32_i32_e32 v30, v30
	v_cvt_f32_i32_e32 v31, v31
	v_cvt_f16_f32_e32 v30, v30
	v_cvt_f16_f32_e32 v37, v31
	v_cvt_f32_f16_e32 v31, v30
	v_cvt_f32_f16_e32 v30, v37
	v_pk_fma_f32 v[4:5], v[30:31], v[40:41], v[4:5] op_sel_hi:[1,0,1]
	v_pk_fma_f32 v[6:7], v[30:31], v[36:37], v[6:7] op_sel_hi:[1,0,1]
	;; [unrolled: 1-line block ×8, first 2 shown]
	v_sub_u32_sdwa v30, v69, v117 dst_sel:DWORD dst_unused:UNUSED_PAD src0_sel:BYTE_1 src1_sel:DWORD
	v_sub_u32_sdwa v31, v68, v112 dst_sel:DWORD dst_unused:UNUSED_PAD src0_sel:BYTE_1 src1_sel:DWORD
	v_cvt_f32_i32_e32 v30, v30
	v_cvt_f32_i32_e32 v31, v31
	v_cvt_f32_f16_sdwa v40, v66 dst_sel:DWORD dst_unused:UNUSED_PAD src0_sel:WORD_1
	v_cvt_f32_f16_sdwa v44, v50 dst_sel:DWORD dst_unused:UNUSED_PAD src0_sel:WORD_1
	v_cvt_f16_f32_e32 v30, v30
	v_cvt_f16_f32_e32 v36, v31
	v_cvt_f32_f16_sdwa v48, v58 dst_sel:DWORD dst_unused:UNUSED_PAD src0_sel:WORD_1
	v_cvt_f32_f16_sdwa v50, v62 dst_sel:DWORD dst_unused:UNUSED_PAD src0_sel:WORD_1
	v_cvt_f32_f16_e32 v31, v30
	v_cvt_f32_f16_e32 v30, v36
	v_cvt_f32_f16_sdwa v36, v46 dst_sel:DWORD dst_unused:UNUSED_PAD src0_sel:WORD_1
	v_cvt_f32_f16_sdwa v46, v54 dst_sel:DWORD dst_unused:UNUSED_PAD src0_sel:WORD_1
	v_pk_fma_f32 v[32:33], v[30:31], v[40:41], v[32:33] op_sel_hi:[1,0,1]
	v_pk_fma_f32 v[20:21], v[30:31], v[36:37], v[20:21] op_sel_hi:[1,0,1]
	;; [unrolled: 1-line block ×8, first 2 shown]
	v_sub_u32_sdwa v30, v71, v114 dst_sel:DWORD dst_unused:UNUSED_PAD src0_sel:BYTE_1 src1_sel:DWORD
	v_sub_u32_sdwa v31, v70, v116 dst_sel:DWORD dst_unused:UNUSED_PAD src0_sel:BYTE_1 src1_sel:DWORD
	v_cvt_f32_i32_e32 v30, v30
	v_cvt_f32_i32_e32 v31, v31
	v_cvt_f16_f32_e32 v30, v30
	v_cvt_f16_f32_e32 v37, v31
	v_cvt_f32_f16_e32 v31, v30
	v_cvt_f32_f16_e32 v30, v37
	v_pk_fma_f32 v[4:5], v[30:31], v[40:41], v[4:5] op_sel_hi:[1,0,1]
	v_pk_fma_f32 v[6:7], v[30:31], v[36:37], v[6:7] op_sel_hi:[1,0,1]
	v_pk_fma_f32 v[8:9], v[30:31], v[38:39], v[8:9] op_sel_hi:[1,0,1]
	v_pk_fma_f32 v[10:11], v[30:31], v[42:43], v[10:11] op_sel_hi:[1,0,1]
	v_pk_fma_f32 v[12:13], v[30:31], v[44:45], v[12:13] op_sel_hi:[1,0,1]
	v_pk_fma_f32 v[14:15], v[30:31], v[46:47], v[14:15] op_sel_hi:[1,0,1]
	v_pk_fma_f32 v[16:17], v[30:31], v[48:49], v[16:17] op_sel_hi:[1,0,1]
	v_pk_fma_f32 v[18:19], v[30:31], v[50:51], v[18:19] op_sel_hi:[1,0,1]
	v_sub_u32_sdwa v30, v69, v117 dst_sel:DWORD dst_unused:UNUSED_PAD src0_sel:BYTE_2 src1_sel:DWORD
	v_sub_u32_sdwa v31, v68, v112 dst_sel:DWORD dst_unused:UNUSED_PAD src0_sel:BYTE_2 src1_sel:DWORD
	v_cvt_f32_i32_e32 v30, v30
	v_cvt_f32_i32_e32 v31, v31
	v_cvt_f32_f16_e32 v38, v67
	v_cvt_f32_f16_e32 v40, v39
	v_cvt_f16_f32_e32 v30, v30
	v_cvt_f16_f32_e32 v36, v31
	v_cvt_f32_f16_e32 v42, v43
	v_cvt_f32_f16_e32 v44, v51
	;; [unrolled: 1-line block ×8, first 2 shown]
	v_pk_fma_f32 v[20:21], v[30:31], v[36:37], v[20:21] op_sel_hi:[1,0,1]
	v_pk_fma_f32 v[32:33], v[30:31], v[38:39], v[32:33] op_sel_hi:[1,0,1]
	;; [unrolled: 1-line block ×8, first 2 shown]
	v_sub_u32_sdwa v30, v71, v114 dst_sel:DWORD dst_unused:UNUSED_PAD src0_sel:BYTE_2 src1_sel:DWORD
	v_sub_u32_sdwa v31, v70, v116 dst_sel:DWORD dst_unused:UNUSED_PAD src0_sel:BYTE_2 src1_sel:DWORD
	v_cvt_f32_i32_e32 v30, v30
	v_cvt_f32_i32_e32 v31, v31
	v_cvt_f16_f32_e32 v30, v30
	v_cvt_f16_f32_e32 v37, v31
	v_cvt_f32_f16_e32 v31, v30
	v_cvt_f32_f16_e32 v30, v37
	v_pk_fma_f32 v[4:5], v[30:31], v[38:39], v[4:5] op_sel_hi:[1,0,1]
	v_pk_fma_f32 v[6:7], v[30:31], v[36:37], v[6:7] op_sel_hi:[1,0,1]
	;; [unrolled: 1-line block ×8, first 2 shown]
	v_sub_u32_sdwa v31, v69, v117 dst_sel:DWORD dst_unused:UNUSED_PAD src0_sel:BYTE_3 src1_sel:DWORD
	v_sub_u32_sdwa v37, v68, v112 dst_sel:DWORD dst_unused:UNUSED_PAD src0_sel:BYTE_3 src1_sel:DWORD
	v_cvt_f32_i32_e32 v31, v31
	v_cvt_f32_i32_e32 v37, v37
	v_cvt_f32_f16_sdwa v36, v39 dst_sel:DWORD dst_unused:UNUSED_PAD src0_sel:WORD_1
	v_cvt_f32_f16_sdwa v40, v51 dst_sel:DWORD dst_unused:UNUSED_PAD src0_sel:WORD_1
	v_cvt_f16_f32_e32 v31, v31
	v_cvt_f16_f32_e32 v37, v37
	v_cvt_f32_f16_sdwa v38, v43 dst_sel:DWORD dst_unused:UNUSED_PAD src0_sel:WORD_1
	v_sub_u32_sdwa v41, v71, v114 dst_sel:DWORD dst_unused:UNUSED_PAD src0_sel:BYTE_3 src1_sel:DWORD
	v_cvt_f32_f16_e32 v51, v31
	v_cvt_f32_f16_e32 v50, v37
	v_sub_u32_sdwa v45, v70, v116 dst_sel:DWORD dst_unused:UNUSED_PAD src0_sel:BYTE_3 src1_sel:DWORD
	v_cvt_f32_f16_sdwa v46, v63 dst_sel:DWORD dst_unused:UNUSED_PAD src0_sel:WORD_1
	v_cvt_f32_f16_sdwa v48, v67 dst_sel:DWORD dst_unused:UNUSED_PAD src0_sel:WORD_1
	v_pk_fma_f32 v[0:1], v[50:51], v[36:37], v[0:1] op_sel_hi:[1,0,1]
	buffer_store_dword v0, off, s[28:31], 0 offset:424 ; 4-byte Folded Spill
	s_nop 0
	buffer_store_dword v1, off, s[28:31], 0 offset:428 ; 4-byte Folded Spill
	v_pk_fma_f32 v[0:1], v[50:51], v[38:39], v[22:23] op_sel_hi:[1,0,1]
	buffer_store_dword v0, off, s[28:31], 0 offset:432 ; 4-byte Folded Spill
	s_nop 0
	buffer_store_dword v1, off, s[28:31], 0 offset:436 ; 4-byte Folded Spill
	v_cvt_f32_i32_e32 v0, v41
	v_cvt_f32_i32_e32 v1, v45
	v_pk_fma_f32 v[66:67], v[50:51], v[46:47], v[2:3] op_sel_hi:[1,0,1]
	v_cvt_f32_f16_sdwa v30, v47 dst_sel:DWORD dst_unused:UNUSED_PAD src0_sel:WORD_1
	v_cvt_f16_f32_e32 v0, v0
	v_cvt_f16_f32_e32 v2, v1
	v_cvt_f32_f16_sdwa v42, v55 dst_sel:DWORD dst_unused:UNUSED_PAD src0_sel:WORD_1
	v_cvt_f32_f16_sdwa v44, v59 dst_sel:DWORD dst_unused:UNUSED_PAD src0_sel:WORD_1
	v_cvt_f32_f16_e32 v1, v0
	v_cvt_f32_f16_e32 v0, v2
	v_pk_fma_f32 v[68:69], v[50:51], v[30:31], v[20:21] op_sel_hi:[1,0,1]
	v_pk_fma_f32 v[96:97], v[50:51], v[48:49], v[32:33] op_sel_hi:[1,0,1]
	;; [unrolled: 1-line block ×4, first 2 shown]
	buffer_store_dword v2, off, s[28:31], 0 offset:416 ; 4-byte Folded Spill
	s_nop 0
	buffer_store_dword v3, off, s[28:31], 0 offset:420 ; 4-byte Folded Spill
	v_pk_fma_f32 v[2:3], v[0:1], v[30:31], v[6:7] op_sel_hi:[1,0,1]
	buffer_store_dword v2, off, s[28:31], 0 offset:408 ; 4-byte Folded Spill
	s_nop 0
	buffer_store_dword v3, off, s[28:31], 0 offset:412 ; 4-byte Folded Spill
	v_pk_fma_f32 v[2:3], v[0:1], v[36:37], v[8:9] op_sel_hi:[1,0,1]
	buffer_store_dword v2, off, s[28:31], 0 offset:400 ; 4-byte Folded Spill
	s_nop 0
	buffer_store_dword v3, off, s[28:31], 0 offset:404 ; 4-byte Folded Spill
	v_pk_fma_f32 v[2:3], v[0:1], v[38:39], v[10:11] op_sel_hi:[1,0,1]
	buffer_store_dword v2, off, s[28:31], 0 offset:392 ; 4-byte Folded Spill
	s_nop 0
	buffer_store_dword v3, off, s[28:31], 0 offset:396 ; 4-byte Folded Spill
	v_pk_fma_f32 v[2:3], v[0:1], v[40:41], v[12:13] op_sel_hi:[1,0,1]
	buffer_store_dword v2, off, s[28:31], 0 offset:384 ; 4-byte Folded Spill
	s_nop 0
	buffer_store_dword v3, off, s[28:31], 0 offset:388 ; 4-byte Folded Spill
	v_pk_fma_f32 v[2:3], v[0:1], v[42:43], v[14:15] op_sel_hi:[1,0,1]
	buffer_store_dword v2, off, s[28:31], 0 offset:376 ; 4-byte Folded Spill
	s_nop 0
	buffer_store_dword v3, off, s[28:31], 0 offset:380 ; 4-byte Folded Spill
	v_pk_fma_f32 v[2:3], v[0:1], v[44:45], v[16:17] op_sel_hi:[1,0,1]
	v_pk_fma_f32 v[0:1], v[0:1], v[46:47], v[18:19] op_sel_hi:[1,0,1]
	v_add_co_u32_e32 v4, vcc, s0, v34
	buffer_store_dword v2, off, s[28:31], 0 offset:368 ; 4-byte Folded Spill
	s_nop 0
	buffer_store_dword v3, off, s[28:31], 0 offset:372 ; 4-byte Folded Spill
	buffer_store_dword v0, off, s[28:31], 0 offset:360 ; 4-byte Folded Spill
	s_nop 0
	buffer_store_dword v1, off, s[28:31], 0 offset:364 ; 4-byte Folded Spill
	v_addc_co_u32_e32 v5, vcc, v35, v115, vcc
	v_add_co_u32_e32 v0, vcc, s0, v4
	v_addc_co_u32_e32 v1, vcc, v5, v115, vcc
	buffer_store_dword v0, off, s[28:31], 0 offset:352 ; 4-byte Folded Spill
	s_nop 0
	buffer_store_dword v1, off, s[28:31], 0 offset:356 ; 4-byte Folded Spill
	v_pk_fma_f32 v[62:63], v[50:51], v[42:43], v[26:27] op_sel_hi:[1,0,1]
	v_pk_fma_f32 v[64:65], v[50:51], v[44:45], v[28:29] op_sel_hi:[1,0,1]
	global_load_dwordx4 v[0:3], v[0:1], off
	s_waitcnt vmcnt(0)
	v_sub_u32_sdwa v49, v0, v112 dst_sel:DWORD dst_unused:UNUSED_PAD src0_sel:BYTE_0 src1_sel:DWORD
	v_sub_u32_sdwa v55, v0, v112 dst_sel:DWORD dst_unused:UNUSED_PAD src0_sel:BYTE_1 src1_sel:DWORD
	v_sub_u32_sdwa v50, v0, v112 dst_sel:DWORD dst_unused:UNUSED_PAD src0_sel:BYTE_2 src1_sel:DWORD
	v_sub_u32_sdwa v52, v0, v112 dst_sel:DWORD dst_unused:UNUSED_PAD src0_sel:BYTE_3 src1_sel:DWORD
	v_sub_u32_sdwa v43, v3, v114 dst_sel:DWORD dst_unused:UNUSED_PAD src0_sel:BYTE_0 src1_sel:DWORD
	v_sub_u32_sdwa v36, v2, v116 dst_sel:DWORD dst_unused:UNUSED_PAD src0_sel:BYTE_0 src1_sel:DWORD
	v_sub_u32_sdwa v45, v3, v114 dst_sel:DWORD dst_unused:UNUSED_PAD src0_sel:BYTE_1 src1_sel:DWORD
	v_sub_u32_sdwa v105, v2, v116 dst_sel:DWORD dst_unused:UNUSED_PAD src0_sel:BYTE_1 src1_sel:DWORD
	v_sub_u32_sdwa v119, v3, v114 dst_sel:DWORD dst_unused:UNUSED_PAD src0_sel:BYTE_2 src1_sel:DWORD
	v_sub_u32_sdwa v121, v2, v116 dst_sel:DWORD dst_unused:UNUSED_PAD src0_sel:BYTE_2 src1_sel:DWORD
	v_sub_u32_sdwa v47, v3, v114 dst_sel:DWORD dst_unused:UNUSED_PAD src0_sel:BYTE_3 src1_sel:DWORD
	v_sub_u32_sdwa v0, v2, v116 dst_sel:DWORD dst_unused:UNUSED_PAD src0_sel:BYTE_3 src1_sel:DWORD
	global_load_dwordx4 v[2:5], v[4:5], off
	v_sub_u32_sdwa v42, v1, v117 dst_sel:DWORD dst_unused:UNUSED_PAD src0_sel:BYTE_0 src1_sel:DWORD
	v_sub_u32_sdwa v98, v1, v117 dst_sel:DWORD dst_unused:UNUSED_PAD src0_sel:BYTE_1 src1_sel:DWORD
	v_sub_u32_sdwa v48, v1, v117 dst_sel:DWORD dst_unused:UNUSED_PAD src0_sel:BYTE_2 src1_sel:DWORD
	v_sub_u32_sdwa v54, v1, v117 dst_sel:DWORD dst_unused:UNUSED_PAD src0_sel:BYTE_3 src1_sel:DWORD
	buffer_store_dword v0, off, s[28:31], 0 offset:440 ; 4-byte Folded Spill
	s_waitcnt vmcnt(1)
	v_sub_u32_sdwa v6, v2, v112 dst_sel:DWORD dst_unused:UNUSED_PAD src0_sel:BYTE_1 src1_sel:DWORD
	v_sub_u32_sdwa v7, v3, v117 dst_sel:DWORD dst_unused:UNUSED_PAD src0_sel:BYTE_1 src1_sel:DWORD
	v_sub_u32_sdwa v38, v2, v112 dst_sel:DWORD dst_unused:UNUSED_PAD src0_sel:BYTE_2 src1_sel:DWORD
	v_sub_u32_sdwa v40, v2, v112 dst_sel:DWORD dst_unused:UNUSED_PAD src0_sel:BYTE_3 src1_sel:DWORD
	v_sub_u32_sdwa v0, v2, v112 dst_sel:DWORD dst_unused:UNUSED_PAD src0_sel:BYTE_0 src1_sel:DWORD
	v_sub_u32_sdwa v1, v3, v117 dst_sel:DWORD dst_unused:UNUSED_PAD src0_sel:BYTE_0 src1_sel:DWORD
	v_sub_u32_sdwa v85, v3, v117 dst_sel:DWORD dst_unused:UNUSED_PAD src0_sel:BYTE_2 src1_sel:DWORD
	v_sub_u32_sdwa v53, v3, v117 dst_sel:DWORD dst_unused:UNUSED_PAD src0_sel:BYTE_3 src1_sel:DWORD
	v_sub_u32_sdwa v3, v4, v116 dst_sel:DWORD dst_unused:UNUSED_PAD src0_sel:BYTE_1 src1_sel:DWORD
	v_sub_u32_sdwa v39, v4, v116 dst_sel:DWORD dst_unused:UNUSED_PAD src0_sel:BYTE_2 src1_sel:DWORD
	v_sub_u32_sdwa v41, v4, v116 dst_sel:DWORD dst_unused:UNUSED_PAD src0_sel:BYTE_3 src1_sel:DWORD
	v_sub_u32_sdwa v2, v4, v116 dst_sel:DWORD dst_unused:UNUSED_PAD src0_sel:BYTE_0 src1_sel:DWORD
	v_sub_u32_sdwa v37, v5, v114 dst_sel:DWORD dst_unused:UNUSED_PAD src0_sel:BYTE_0 src1_sel:DWORD
	v_sub_u32_sdwa v89, v5, v114 dst_sel:DWORD dst_unused:UNUSED_PAD src0_sel:BYTE_1 src1_sel:DWORD
	v_sub_u32_sdwa v44, v5, v114 dst_sel:DWORD dst_unused:UNUSED_PAD src0_sel:BYTE_2 src1_sel:DWORD
	v_sub_u32_sdwa v51, v5, v114 dst_sel:DWORD dst_unused:UNUSED_PAD src0_sel:BYTE_3 src1_sel:DWORD
	v_cvt_f32_i32_e32 v4, v7
	v_cvt_f32_i32_e32 v5, v6
	;; [unrolled: 1-line block ×4, first 2 shown]
	v_cvt_f16_f32_e32 v4, v4
	v_cvt_f16_f32_e32 v5, v5
	;; [unrolled: 1-line block ×4, first 2 shown]
	v_cvt_f32_f16_e32 v109, v4
	v_cvt_f32_f16_e32 v108, v5
	ds_read_b128 v[4:7], v126 offset:48
	v_cvt_f32_f16_e32 v1, v1
	v_cvt_f32_f16_e32 v0, v0
	v_cvt_f32_i32_e32 v2, v2
	v_cvt_f32_i32_e32 v37, v37
	s_waitcnt lgkmcnt(0)
	v_cvt_f32_f16_e32 v104, v4
	v_cvt_f32_f16_sdwa v4, v4 dst_sel:DWORD dst_unused:UNUSED_PAD src0_sel:WORD_1
	v_cvt_f16_f32_e32 v2, v2
	v_cvt_f16_f32_e32 v37, v37
	v_pk_fma_f32 v[8:9], v[0:1], v[104:105], 0 op_sel_hi:[1,0,0]
	v_pk_fma_f32 v[102:103], v[108:109], v[4:5], v[8:9] op_sel_hi:[1,0,1]
	ds_read_b128 v[8:11], v126 offset:304
	s_waitcnt lgkmcnt(0)
	v_cvt_f32_f16_e32 v106, v8
	v_cvt_f32_f16_sdwa v8, v8 dst_sel:DWORD dst_unused:UNUSED_PAD src0_sel:WORD_1
	v_pk_fma_f32 v[12:13], v[0:1], v[106:107], 0 op_sel_hi:[1,0,0]
	v_pk_fma_f32 v[74:75], v[108:109], v[8:9], v[12:13] op_sel_hi:[1,0,1]
	ds_read_b128 v[12:15], v126 offset:560
	s_waitcnt lgkmcnt(0)
	v_cvt_f32_f16_e32 v110, v12
	v_cvt_f32_f16_sdwa v12, v12 dst_sel:DWORD dst_unused:UNUSED_PAD src0_sel:WORD_1
	;; [unrolled: 6-line block ×4, first 2 shown]
	v_cvt_f32_f16_sdwa v88, v23 dst_sel:DWORD dst_unused:UNUSED_PAD src0_sel:WORD_1
	v_pk_fma_f32 v[24:25], v[0:1], v[114:115], 0 op_sel_hi:[1,0,0]
	v_pk_fma_f32 v[86:87], v[108:109], v[20:21], v[24:25] op_sel_hi:[1,0,1]
	ds_read_b128 v[24:27], v126 offset:1328
	s_waitcnt lgkmcnt(0)
	v_cvt_f32_f16_e32 v116, v24
	v_cvt_f32_f16_sdwa v24, v24 dst_sel:DWORD dst_unused:UNUSED_PAD src0_sel:WORD_1
	v_cvt_f32_f16_sdwa v46, v27 dst_sel:DWORD dst_unused:UNUSED_PAD src0_sel:WORD_1
	v_pk_fma_f32 v[28:29], v[0:1], v[116:117], 0 op_sel_hi:[1,0,0]
	v_pk_fma_f32 v[90:91], v[108:109], v[24:25], v[28:29] op_sel_hi:[1,0,1]
	ds_read_b128 v[28:31], v126 offset:1584
	s_waitcnt lgkmcnt(0)
	v_cvt_f32_f16_e32 v118, v28
	v_cvt_f32_f16_sdwa v28, v28 dst_sel:DWORD dst_unused:UNUSED_PAD src0_sel:WORD_1
	v_pk_fma_f32 v[32:33], v[0:1], v[118:119], 0 op_sel_hi:[1,0,0]
	v_pk_fma_f32 v[94:95], v[108:109], v[28:29], v[32:33] op_sel_hi:[1,0,1]
	ds_read_b128 v[32:35], v126 offset:1840
	v_cvt_f32_f16_e32 v126, v23
	s_waitcnt lgkmcnt(0)
	v_cvt_f32_f16_e32 v120, v32
	v_cvt_f32_f16_sdwa v32, v32 dst_sel:DWORD dst_unused:UNUSED_PAD src0_sel:WORD_1
	v_pk_fma_f32 v[0:1], v[0:1], v[120:121], 0 op_sel_hi:[1,0,0]
	v_pk_fma_f32 v[0:1], v[108:109], v[32:33], v[0:1] op_sel_hi:[1,0,1]
	v_cvt_f32_f16_e32 v108, v2
	v_cvt_f32_i32_e32 v2, v3
	v_cvt_f32_i32_e32 v3, v89
	v_cvt_f32_f16_e32 v109, v37
	v_cvt_f32_i32_e32 v37, v44
	v_cvt_f16_f32_e32 v2, v2
	v_cvt_f16_f32_e32 v3, v3
	v_pk_fma_f32 v[80:81], v[108:109], v[104:105], 0 op_sel_hi:[1,0,0]
	v_pk_fma_f32 v[106:107], v[108:109], v[106:107], 0 op_sel_hi:[1,0,0]
	v_cvt_f32_f16_e32 v2, v2
	v_cvt_f32_f16_e32 v3, v3
	v_cvt_f16_f32_e32 v37, v37
	v_pk_fma_f32 v[110:111], v[108:109], v[110:111], 0 op_sel_hi:[1,0,0]
	v_pk_fma_f32 v[72:73], v[108:109], v[112:113], 0 op_sel_hi:[1,0,0]
	;; [unrolled: 1-line block ×4, first 2 shown]
	v_cvt_f32_i32_e32 v4, v85
	v_cvt_f32_i32_e32 v8, v38
	;; [unrolled: 1-line block ×3, first 2 shown]
	v_pk_fma_f32 v[76:77], v[108:109], v[114:115], 0 op_sel_hi:[1,0,0]
	v_cvt_f16_f32_e32 v4, v4
	v_cvt_f16_f32_e32 v8, v8
	;; [unrolled: 1-line block ×3, first 2 shown]
	v_pk_fma_f32 v[116:117], v[108:109], v[116:117], 0 op_sel_hi:[1,0,0]
	v_pk_fma_f32 v[124:125], v[108:109], v[118:119], 0 op_sel_hi:[1,0,0]
	;; [unrolled: 1-line block ×9, first 2 shown]
	v_cvt_f32_f16_e32 v109, v4
	v_cvt_f32_f16_e32 v108, v8
	;; [unrolled: 1-line block ×6, first 2 shown]
	v_pk_fma_f32 v[102:103], v[108:109], v[4:5], v[102:103] op_sel_hi:[1,0,1]
	v_pk_fma_f32 v[74:75], v[108:109], v[8:9], v[74:75] op_sel_hi:[1,0,1]
	v_cvt_f32_f16_e32 v12, v13
	v_pk_fma_f32 v[80:81], v[38:39], v[4:5], v[80:81] op_sel_hi:[1,0,1]
	v_pk_fma_f32 v[106:107], v[38:39], v[8:9], v[106:107] op_sel_hi:[1,0,1]
	v_cvt_f32_i32_e32 v4, v53
	v_cvt_f32_i32_e32 v8, v40
	v_cvt_f32_f16_e32 v16, v17
	v_cvt_f32_f16_e32 v20, v21
	v_cvt_f32_f16_e32 v24, v25
	v_cvt_f32_f16_e32 v28, v29
	v_cvt_f32_f16_e32 v32, v33
	v_cvt_f16_f32_e32 v4, v4
	v_cvt_f16_f32_e32 v8, v8
	v_pk_fma_f32 v[78:79], v[108:109], v[12:13], v[78:79] op_sel_hi:[1,0,1]
	v_pk_fma_f32 v[82:83], v[108:109], v[16:17], v[82:83] op_sel_hi:[1,0,1]
	;; [unrolled: 1-line block ×12, first 2 shown]
	v_cvt_f32_f16_e32 v39, v4
	v_cvt_f32_f16_e32 v38, v8
	v_cvt_f32_f16_sdwa v4, v5 dst_sel:DWORD dst_unused:UNUSED_PAD src0_sel:WORD_1
	v_cvt_f32_f16_sdwa v8, v9 dst_sel:DWORD dst_unused:UNUSED_PAD src0_sel:WORD_1
	;; [unrolled: 1-line block ×4, first 2 shown]
	v_pk_fma_f32 v[102:103], v[38:39], v[4:5], v[102:103] op_sel_hi:[1,0,1]
	v_pk_fma_f32 v[74:75], v[38:39], v[8:9], v[74:75] op_sel_hi:[1,0,1]
	v_cvt_f32_i32_e32 v5, v51
	v_cvt_f32_i32_e32 v9, v41
	v_cvt_f32_f16_sdwa v20, v21 dst_sel:DWORD dst_unused:UNUSED_PAD src0_sel:WORD_1
	v_cvt_f32_f16_sdwa v24, v25 dst_sel:DWORD dst_unused:UNUSED_PAD src0_sel:WORD_1
	;; [unrolled: 1-line block ×4, first 2 shown]
	v_cvt_f16_f32_e32 v5, v5
	v_cvt_f16_f32_e32 v9, v9
	v_pk_fma_f32 v[78:79], v[38:39], v[12:13], v[78:79] op_sel_hi:[1,0,1]
	v_pk_fma_f32 v[82:83], v[38:39], v[16:17], v[82:83] op_sel_hi:[1,0,1]
	;; [unrolled: 1-line block ×6, first 2 shown]
	v_cvt_f32_f16_e32 v39, v5
	v_cvt_f32_f16_e32 v38, v9
	;; [unrolled: 1-line block ×3, first 2 shown]
	v_cvt_f32_f16_sdwa v124, v22 dst_sel:DWORD dst_unused:UNUSED_PAD src0_sel:WORD_1
	v_cvt_f32_f16_e32 v112, v15
	v_pk_fma_f32 v[40:41], v[38:39], v[24:25], v[110:111] op_sel_hi:[1,0,1]
	v_cvt_f32_i32_e32 v24, v42
	v_cvt_f32_i32_e32 v25, v49
	v_pk_fma_f32 v[2:3], v[38:39], v[32:33], v[2:3] op_sel_hi:[1,0,1]
	v_cvt_f32_f16_e32 v42, v10
	v_cvt_f16_f32_e32 v24, v24
	v_cvt_f16_f32_e32 v32, v25
	v_pk_fma_f32 v[12:13], v[38:39], v[12:13], v[108:109] op_sel_hi:[1,0,1]
	v_pk_fma_f32 v[16:17], v[38:39], v[16:17], v[72:73] op_sel_hi:[1,0,1]
	v_cvt_f32_f16_e32 v25, v24
	v_cvt_f32_f16_e32 v24, v32
	;; [unrolled: 1-line block ×4, first 2 shown]
	v_pk_fma_f32 v[4:5], v[38:39], v[4:5], v[80:81] op_sel_hi:[1,0,1]
	v_pk_fma_f32 v[72:73], v[24:25], v[42:43], v[74:75] op_sel_hi:[1,0,1]
	v_cvt_f32_f16_e32 v74, v14
	v_pk_fma_f32 v[8:9], v[38:39], v[8:9], v[106:107] op_sel_hi:[1,0,1]
	v_pk_fma_f32 v[20:21], v[38:39], v[20:21], v[76:77] op_sel_hi:[1,0,1]
	;; [unrolled: 1-line block ×5, first 2 shown]
	v_cvt_f32_f16_e32 v78, v18
	v_cvt_f32_f16_e32 v102, v22
	;; [unrolled: 1-line block ×3, first 2 shown]
	v_pk_fma_f32 v[110:111], v[24:25], v[108:109], v[0:1] op_sel_hi:[1,0,1]
	v_cvt_f32_i32_e32 v0, v43
	v_cvt_f32_i32_e32 v1, v36
	v_pk_fma_f32 v[80:81], v[24:25], v[78:79], v[82:83] op_sel_hi:[1,0,1]
	v_pk_fma_f32 v[86:87], v[24:25], v[102:103], v[86:87] op_sel_hi:[1,0,1]
	;; [unrolled: 1-line block ×4, first 2 shown]
	v_cvt_f16_f32_e32 v0, v0
	v_cvt_f16_f32_e32 v24, v1
	v_cvt_f32_f16_sdwa v36, v18 dst_sel:DWORD dst_unused:UNUSED_PAD src0_sel:WORD_1
	v_cvt_f32_f16_sdwa v30, v30 dst_sel:DWORD dst_unused:UNUSED_PAD src0_sel:WORD_1
	v_cvt_f32_f16_e32 v1, v0
	v_cvt_f32_f16_e32 v0, v24
	v_cvt_f32_f16_e32 v118, v19
	v_cvt_f32_f16_e32 v44, v27
	v_cvt_f32_f16_e32 v24, v31
	v_pk_fma_f32 v[70:71], v[0:1], v[42:43], v[8:9] op_sel_hi:[1,0,1]
	v_pk_fma_f32 v[84:85], v[0:1], v[102:103], v[20:21] op_sel_hi:[1,0,1]
	v_cvt_f32_f16_sdwa v102, v10 dst_sel:DWORD dst_unused:UNUSED_PAD src0_sel:WORD_1
	v_cvt_f32_f16_sdwa v10, v31 dst_sel:DWORD dst_unused:UNUSED_PAD src0_sel:WORD_1
	;; [unrolled: 1-line block ×3, first 2 shown]
	v_pk_fma_f32 v[82:83], v[0:1], v[74:75], v[12:13] op_sel_hi:[1,0,1]
	v_cvt_f32_f16_sdwa v12, v6 dst_sel:DWORD dst_unused:UNUSED_PAD src0_sel:WORD_1
	v_cvt_f32_f16_e32 v6, v35
	v_pk_fma_f32 v[116:117], v[0:1], v[32:33], v[4:5] op_sel_hi:[1,0,1]
	v_pk_fma_f32 v[78:79], v[0:1], v[78:79], v[16:17] op_sel_hi:[1,0,1]
	;; [unrolled: 1-line block ×5, first 2 shown]
	buffer_store_dword v0, off, s[28:31], 0 offset:448 ; 4-byte Folded Spill
	s_nop 0
	buffer_store_dword v1, off, s[28:31], 0 offset:452 ; 4-byte Folded Spill
	v_cvt_f32_f16_e32 v104, v11
	v_cvt_f32_f16_sdwa v106, v11 dst_sel:DWORD dst_unused:UNUSED_PAD src0_sel:WORD_1
	buffer_store_dword v10, off, s[28:31], 0 offset:480 ; 4-byte Folded Spill
	s_nop 0
	buffer_store_dword v11, off, s[28:31], 0 offset:484 ; 4-byte Folded Spill
	buffer_store_dword v8, off, s[28:31], 0 offset:456 ; 4-byte Folded Spill
	s_nop 0
	buffer_store_dword v9, off, s[28:31], 0 offset:460 ; 4-byte Folded Spill
	v_cvt_f32_f16_e32 v28, v7
	v_cvt_f32_f16_sdwa v40, v7 dst_sel:DWORD dst_unused:UNUSED_PAD src0_sel:WORD_1
	buffer_store_dword v6, off, s[28:31], 0 offset:464 ; 4-byte Folded Spill
	s_nop 0
	buffer_store_dword v7, off, s[28:31], 0 offset:468 ; 4-byte Folded Spill
	v_cvt_f32_i32_e32 v0, v98
	v_cvt_f32_i32_e32 v1, v55
	v_cvt_f32_f16_sdwa v4, v35 dst_sel:DWORD dst_unused:UNUSED_PAD src0_sel:WORD_1
	v_cvt_f32_f16_sdwa v108, v14 dst_sel:DWORD dst_unused:UNUSED_PAD src0_sel:WORD_1
	v_cvt_f16_f32_e32 v0, v0
	v_cvt_f16_f32_e32 v1, v1
	v_cvt_f32_f16_sdwa v42, v26 dst_sel:DWORD dst_unused:UNUSED_PAD src0_sel:WORD_1
	buffer_store_dword v4, off, s[28:31], 0 offset:472 ; 4-byte Folded Spill
	s_nop 0
	buffer_store_dword v5, off, s[28:31], 0 offset:476 ; 4-byte Folded Spill
	v_cvt_f32_f16_e32 v3, v0
	v_cvt_f32_f16_e32 v2, v1
	v_cvt_f32_i32_e32 v0, v48
	v_cvt_f32_i32_e32 v1, v50
	buffer_load_dword v20, off, s[28:31], 0 offset:56 ; 4-byte Folded Reload
	buffer_load_dword v21, off, s[28:31], 0 offset:60 ; 4-byte Folded Reload
	v_cvt_f32_f16_sdwa v114, v15 dst_sel:DWORD dst_unused:UNUSED_PAD src0_sel:WORD_1
	v_cvt_f16_f32_e32 v0, v0
	v_cvt_f16_f32_e32 v1, v1
	v_pk_fma_f32 v[14:15], v[2:3], v[12:13], v[38:39] op_sel_hi:[1,0,1]
	v_pk_fma_f32 v[32:33], v[2:3], v[102:103], v[72:73] op_sel_hi:[1,0,1]
	v_cvt_f32_f16_e32 v49, v0
	v_cvt_f32_f16_e32 v48, v1
	v_cvt_f32_i32_e32 v0, v54
	v_cvt_f32_i32_e32 v1, v52
	v_pk_fma_f32 v[34:35], v[2:3], v[108:109], v[76:77] op_sel_hi:[1,0,1]
	v_pk_fma_f32 v[38:39], v[2:3], v[36:37], v[80:81] op_sel_hi:[1,0,1]
	v_cvt_f16_f32_e32 v0, v0
	v_cvt_f16_f32_e32 v1, v1
	v_pk_fma_f32 v[72:73], v[2:3], v[124:125], v[86:87] op_sel_hi:[1,0,1]
	v_pk_fma_f32 v[74:75], v[2:3], v[42:43], v[90:91] op_sel_hi:[1,0,1]
	;; [unrolled: 1-line block ×10, first 2 shown]
	v_cvt_f32_f16_sdwa v120, v19 dst_sel:DWORD dst_unused:UNUSED_PAD src0_sel:WORD_1
	v_pk_fma_f32 v[2:3], v[2:3], v[8:9], v[110:111] op_sel_hi:[1,0,1]
	v_pk_fma_f32 v[2:3], v[48:49], v[6:7], v[2:3] op_sel_hi:[1,0,1]
	v_cvt_f32_f16_e32 v49, v0
	v_cvt_f32_f16_e32 v48, v1
	buffer_load_dword v0, off, s[28:31], 0 offset:176 ; 4-byte Folded Reload
	buffer_load_dword v1, off, s[28:31], 0 offset:180 ; 4-byte Folded Reload
	v_pk_fma_f32 v[14:15], v[48:49], v[40:41], v[14:15] op_sel_hi:[1,0,1]
	v_pk_fma_f32 v[32:33], v[48:49], v[106:107], v[32:33] op_sel_hi:[1,0,1]
	;; [unrolled: 1-line block ×8, first 2 shown]
	s_waitcnt vmcnt(3)
	v_cvt_f32_f16_sdwa v49, v20 dst_sel:DWORD dst_unused:UNUSED_PAD src0_sel:WORD_1
	v_cvt_f32_f16_e32 v48, v20
	v_pk_mul_f32 v[56:57], v[68:69], v[48:49]
	v_pk_mul_f32 v[74:75], v[60:61], v[48:49]
	;; [unrolled: 1-line block ×5, first 2 shown]
	v_cvt_f32_i32_e32 v2, v45
	v_cvt_f32_i32_e32 v3, v105
	v_pk_mul_f32 v[100:101], v[100:101], v[48:49]
	v_pk_mul_f32 v[58:59], v[96:97], v[48:49]
	v_cvt_f16_f32_e32 v2, v2
	v_cvt_f16_f32_e32 v13, v3
	v_pk_mul_f32 v[96:97], v[62:63], v[48:49]
	v_pk_mul_f32 v[66:67], v[66:67], v[48:49]
	v_cvt_f32_f16_e32 v3, v2
	v_cvt_f32_f16_e32 v2, v13
	v_pk_mul_f32 v[62:63], v[32:33], v[48:49]
	v_pk_mul_f32 v[32:33], v[38:39], v[48:49]
	;; [unrolled: 1-line block ×3, first 2 shown]
	v_pk_fma_f32 v[42:43], v[2:3], v[42:43], v[92:93] op_sel_hi:[1,0,1]
	v_pk_fma_f32 v[30:31], v[2:3], v[30:31], v[122:123] op_sel_hi:[1,0,1]
	v_pk_mul_f32 v[50:51], v[52:53], v[48:49]
	v_pk_fma_f32 v[36:37], v[2:3], v[36:37], v[78:79] op_sel_hi:[1,0,1]
	s_waitcnt vmcnt(0)
	v_pk_mul_f32 v[90:91], v[0:1], v[48:49]
	buffer_load_dword v0, off, s[28:31], 0 offset:184 ; 4-byte Folded Reload
	buffer_load_dword v1, off, s[28:31], 0 offset:188 ; 4-byte Folded Reload
	s_waitcnt vmcnt(0)
	v_pk_mul_f32 v[94:95], v[0:1], v[48:49]
	buffer_load_dword v0, off, s[28:31], 0 offset:336 ; 4-byte Folded Reload
	buffer_load_dword v1, off, s[28:31], 0 offset:340 ; 4-byte Folded Reload
	s_waitcnt vmcnt(0)
	v_pk_mul_f32 v[110:111], v[0:1], v[48:49]
	buffer_load_dword v0, off, s[28:31], 0 offset:344 ; 4-byte Folded Reload
	buffer_load_dword v1, off, s[28:31], 0 offset:348 ; 4-byte Folded Reload
	s_waitcnt vmcnt(0)
	v_pk_mul_f32 v[54:55], v[0:1], v[48:49]
	buffer_load_dword v0, off, s[28:31], 0 offset:168 ; 4-byte Folded Reload
	buffer_load_dword v1, off, s[28:31], 0 offset:172 ; 4-byte Folded Reload
	s_waitcnt vmcnt(0)
	v_pk_mul_f32 v[72:73], v[0:1], v[48:49]
	buffer_load_dword v0, off, s[28:31], 0 offset:328 ; 4-byte Folded Reload
	buffer_load_dword v1, off, s[28:31], 0 offset:332 ; 4-byte Folded Reload
	buffer_load_dword v4, off, s[28:31], 0 offset:160 ; 4-byte Folded Reload
	buffer_load_dword v5, off, s[28:31], 0 offset:164 ; 4-byte Folded Reload
	;; [unrolled: 1-line block ×6, first 2 shown]
	s_waitcnt vmcnt(6)
	v_pk_mul_f32 v[0:1], v[0:1], v[48:49]
	v_cvt_f16_f32_e32 v1, v1
	v_cvt_f16_f32_e32 v0, v0
	s_waitcnt vmcnt(0)
	v_pk_mul_f32 v[98:99], v[8:9], v[48:49]
	buffer_load_dword v8, off, s[28:31], 0 offset:144 ; 4-byte Folded Reload
	buffer_load_dword v9, off, s[28:31], 0 offset:148 ; 4-byte Folded Reload
	;; [unrolled: 1-line block ×14, first 2 shown]
	v_pk_mul_f32 v[4:5], v[4:5], v[48:49]
	v_pack_b32_f16 v0, v0, v1
	v_cvt_f16_f32_e32 v1, v5
	v_cvt_f16_f32_e32 v4, v4
	v_pk_mul_f32 v[6:7], v[6:7], v[48:49]
	v_cvt_f16_f32_e32 v5, v7
	v_cvt_f16_f32_e32 v6, v6
	s_waitcnt vmcnt(12)
	v_pk_mul_f32 v[8:9], v[8:9], v[48:49]
	s_waitcnt vmcnt(10)
	v_pk_mul_f32 v[10:11], v[10:11], v[48:49]
	;; [unrolled: 2-line block ×7, first 2 shown]
	buffer_load_dword v68, off, s[28:31], 0 offset:432 ; 4-byte Folded Reload
	buffer_load_dword v69, off, s[28:31], 0 offset:436 ; 4-byte Folded Reload
	s_waitcnt vmcnt(0)
	v_pk_mul_f32 v[76:77], v[68:69], v[48:49]
	v_pk_mul_f32 v[68:69], v[64:65], v[48:49]
	;; [unrolled: 1-line block ×3, first 2 shown]
	v_pk_fma_f32 v[14:15], v[2:3], v[12:13], v[116:117] op_sel_hi:[1,0,1]
	v_cvt_f32_i32_e32 v12, v119
	v_cvt_f32_i32_e32 v13, v121
	v_pk_fma_f32 v[48:49], v[2:3], v[108:109], v[82:83] op_sel_hi:[1,0,1]
	v_cvt_f16_f32_e32 v12, v12
	v_cvt_f16_f32_e32 v25, v13
	v_cvt_f32_f16_e32 v13, v12
	v_cvt_f32_f16_e32 v12, v25
	v_pk_fma_f32 v[28:29], v[12:13], v[28:29], v[14:15] op_sel_hi:[1,0,1]
	buffer_load_dword v15, off, s[28:31], 0 offset:440 ; 4-byte Folded Reload
	v_pk_fma_f32 v[42:43], v[12:13], v[44:45], v[42:43] op_sel_hi:[1,0,1]
	v_cvt_f16_f32_e32 v45, v54
	buffer_load_dword v54, off, s[28:31], 0 offset:8 ; 4-byte Folded Reload
	v_cvt_f32_i32_e32 v14, v47
	v_cvt_f16_f32_e32 v44, v55
	v_pk_fma_f32 v[48:49], v[12:13], v[112:113], v[48:49] op_sel_hi:[1,0,1]
	v_pk_fma_f32 v[36:37], v[12:13], v[118:119], v[36:37] op_sel_hi:[1,0,1]
	v_cvt_f16_f32_e32 v14, v14
	s_waitcnt vmcnt(1)
	v_cvt_f32_i32_e32 v15, v15
	v_cvt_f16_f32_e32 v25, v15
	v_cvt_f32_f16_e32 v15, v14
	v_cvt_f32_f16_e32 v14, v25
	v_pk_fma_f32 v[24:25], v[12:13], v[24:25], v[30:31] op_sel_hi:[1,0,1]
	v_cvt_f16_f32_e32 v30, v91
	v_cvt_f16_f32_e32 v31, v90
	v_pk_fma_f32 v[40:41], v[14:15], v[40:41], v[28:29] op_sel_hi:[1,0,1]
	v_pk_fma_f32 v[28:29], v[2:3], v[102:103], v[70:71] op_sel_hi:[1,0,1]
	;; [unrolled: 1-line block ×3, first 2 shown]
	v_cvt_f16_f32_e32 v42, v95
	v_cvt_f16_f32_e32 v43, v94
	v_pack_b32_f16 v30, v31, v30
	v_pk_add_f16 v30, v113, v30
	v_pk_fma_f32 v[28:29], v[12:13], v[104:105], v[28:29] op_sel_hi:[1,0,1]
	v_pack_b32_f16 v31, v43, v42
	v_cvt_f16_f32_e32 v42, v111
	v_cvt_f16_f32_e32 v43, v110
	s_waitcnt vmcnt(0)
	v_pk_add_f16 v31, v54, v31
	v_pk_fma_f32 v[28:29], v[14:15], v[106:107], v[28:29] op_sel_hi:[1,0,1]
	v_pk_fma_f32 v[52:53], v[14:15], v[114:115], v[48:49] op_sel_hi:[1,0,1]
	v_pack_b32_f16 v42, v43, v42
	v_pk_add_f16 v42, v30, v42
	v_pack_b32_f16 v30, v45, v44
	v_pk_add_f16 v45, v31, v30
	buffer_load_dword v31, off, s[28:31], 0 offset:52 ; 4-byte Folded Reload
	v_cvt_f16_f32_e32 v43, v73
	v_cvt_f16_f32_e32 v44, v72
	v_pk_fma_f32 v[48:49], v[14:15], v[120:121], v[36:37] op_sel_hi:[1,0,1]
	v_pk_fma_f32 v[36:37], v[2:3], v[124:125], v[84:85] op_sel_hi:[1,0,1]
	;; [unrolled: 1-line block ×3, first 2 shown]
	v_pack_b32_f16 v30, v44, v43
	v_pk_fma_f32 v[36:37], v[14:15], v[88:89], v[36:37] op_sel_hi:[1,0,1]
	s_waitcnt vmcnt(0)
	v_pk_add_f16 v30, v31, v30
	v_pk_add_f16 v7, v30, v0
	v_pack_b32_f16 v0, v4, v1
	buffer_load_dword v1, off, s[28:31], 0 offset:44 ; 4-byte Folded Reload
	v_cvt_f16_f32_e32 v4, v99
	v_cvt_f16_f32_e32 v30, v100
	v_cvt_f32_f16_sdwa v31, v21 dst_sel:DWORD dst_unused:UNUSED_PAD src0_sel:WORD_1
	s_waitcnt vmcnt(0)
	v_pk_add_f16 v0, v1, v0
	v_pack_b32_f16 v1, v6, v5
	v_pk_add_f16 v43, v0, v1
	buffer_load_dword v1, off, s[28:31], 0 offset:36 ; 4-byte Folded Reload
	v_cvt_f16_f32_e32 v5, v98
	v_cvt_f16_f32_e32 v6, v101
	v_pack_b32_f16 v0, v5, v4
	v_cvt_f16_f32_e32 v4, v9
	v_cvt_f16_f32_e32 v5, v8
	;; [unrolled: 1-line block ×3, first 2 shown]
	s_waitcnt vmcnt(0)
	v_pk_add_f16 v0, v1, v0
	v_pack_b32_f16 v1, v30, v6
	v_pk_add_f16 v9, v0, v1
	buffer_load_dword v1, off, s[28:31], 0 offset:28 ; 4-byte Folded Reload
	v_cvt_f16_f32_e32 v6, v11
	v_pack_b32_f16 v0, v5, v4
	v_cvt_f16_f32_e32 v4, v17
	v_cvt_f16_f32_e32 v5, v16
	v_cvt_f32_f16_e32 v30, v21
	v_cvt_f16_f32_e32 v16, v80
	v_cvt_f16_f32_e32 v17, v75
	s_waitcnt vmcnt(0)
	v_pk_add_f16 v0, v1, v0
	v_pack_b32_f16 v1, v8, v6
	v_pk_add_f16 v10, v0, v1
	buffer_load_dword v1, off, s[28:31], 0 offset:16 ; 4-byte Folded Reload
	v_cvt_f16_f32_e32 v6, v19
	v_cvt_f16_f32_e32 v8, v18
	v_pack_b32_f16 v0, v5, v4
	v_cvt_f16_f32_e32 v4, v23
	v_cvt_f16_f32_e32 v5, v22
	;; [unrolled: 1-line block ×4, first 2 shown]
	s_waitcnt vmcnt(0)
	v_pk_add_f16 v0, v1, v0
	v_pack_b32_f16 v1, v8, v6
	v_pk_add_f16 v11, v0, v1
	buffer_load_dword v1, off, s[28:31], 0 offset:4 ; 4-byte Folded Reload
	v_pack_b32_f16 v0, v5, v4
	v_cvt_f16_f32_e32 v6, v27
	v_cvt_f16_f32_e32 v8, v26
	v_pack_b32_f16 v5, v8, v6
	v_cvt_f16_f32_e32 v6, v57
	v_cvt_f16_f32_e32 v8, v56
	s_waitcnt vmcnt(0)
	v_pk_add_f16 v4, v1, v0
	buffer_load_dword v0, off, s[28:31], 0 offset:120 ; 4-byte Folded Reload
	buffer_load_dword v1, off, s[28:31], 0 offset:124 ; 4-byte Folded Reload
	v_pk_add_f16 v4, v4, v5
	s_waitcnt vmcnt(0)
	v_pk_mul_f32 v[0:1], v[0:1], v[30:31]
	v_cvt_f16_f32_e32 v1, v1
	v_cvt_f16_f32_e32 v0, v0
	v_pack_b32_f16 v0, v0, v1
	buffer_load_dword v1, off, s[28:31], 0 offset:20 ; 4-byte Folded Reload
	s_waitcnt vmcnt(0)
	v_pk_add_f16 v5, v1, v0
	v_pack_b32_f16 v0, v8, v6
	v_cvt_f16_f32_e32 v1, v59
	v_cvt_f16_f32_e32 v6, v58
	;; [unrolled: 1-line block ×3, first 2 shown]
	v_pk_add_f16 v0, v42, v0
	v_pack_b32_f16 v1, v6, v1
	v_pk_add_f16 v6, v45, v1
	v_pack_b32_f16 v1, v16, v8
	v_cvt_f16_f32_e32 v8, v77
	v_cvt_f16_f32_e32 v16, v76
	v_pk_add_f16 v1, v7, v1
	v_pack_b32_f16 v7, v16, v8
	v_pack_b32_f16 v8, v18, v17
	v_cvt_f16_f32_e32 v16, v97
	v_cvt_f16_f32_e32 v17, v96
	;; [unrolled: 1-line block ×3, first 2 shown]
	v_pk_add_f16 v8, v9, v8
	v_pk_add_f16 v7, v43, v7
	v_pack_b32_f16 v9, v17, v16
	v_cvt_f16_f32_e32 v16, v67
	v_cvt_f16_f32_e32 v17, v66
	v_pk_add_f16 v9, v10, v9
	v_pack_b32_f16 v10, v19, v18
	v_cvt_f16_f32_e32 v18, v65
	v_cvt_f16_f32_e32 v19, v64
	;; [unrolled: 4-line block ×4, first 2 shown]
	v_pk_add_f16 v113, v0, v11
	v_pack_b32_f16 v0, v17, v16
	v_pk_add_f16 v42, v1, v0
	v_cvt_f16_f32_e32 v1, v33
	v_cvt_f16_f32_e32 v11, v32
	v_pack_b32_f16 v0, v19, v18
	v_cvt_f16_f32_e32 v16, v39
	v_cvt_f16_f32_e32 v17, v38
	v_pk_add_f16 v38, v7, v0
	v_pack_b32_f16 v0, v11, v1
	v_cvt_f16_f32_e32 v1, v51
	v_cvt_f16_f32_e32 v7, v50
	v_pk_add_f16 v23, v8, v0
	v_pack_b32_f16 v0, v17, v16
	v_pk_add_f16 v22, v9, v0
	v_pack_b32_f16 v0, v7, v1
	v_cvt_f16_f32_e32 v11, v34
	v_pk_add_f16 v34, v10, v0
	buffer_load_dword v0, off, s[28:31], 0 offset:256 ; 4-byte Folded Reload
	buffer_load_dword v1, off, s[28:31], 0 offset:260 ; 4-byte Folded Reload
	v_cvt_f16_f32_e32 v8, v35
	v_cvt_f16_f32_e32 v9, v86
	v_pack_b32_f16 v7, v11, v8
	v_cvt_f16_f32_e32 v8, v87
	v_pk_add_f16 v19, v4, v7
	v_pack_b32_f16 v4, v9, v8
	v_pk_add_f16 v32, v6, v4
	s_waitcnt vmcnt(0)
	v_pk_mul_f32 v[0:1], v[0:1], v[30:31]
	v_cvt_f16_f32_e32 v1, v1
	v_cvt_f16_f32_e32 v0, v0
	v_pack_b32_f16 v4, v0, v1
	buffer_load_dword v0, off, s[28:31], 0 offset:416 ; 4-byte Folded Reload
	buffer_load_dword v1, off, s[28:31], 0 offset:420 ; 4-byte Folded Reload
	v_pk_add_f16 v4, v5, v4
	s_waitcnt vmcnt(0)
	v_pk_mul_f32 v[0:1], v[0:1], v[30:31]
	v_cvt_f16_f32_e32 v6, v1
	v_cvt_f16_f32_e32 v7, v0
	buffer_load_dword v0, off, s[28:31], 0 offset:112 ; 4-byte Folded Reload
	buffer_load_dword v1, off, s[28:31], 0 offset:116 ; 4-byte Folded Reload
	v_pack_b32_f16 v5, v7, v6
	v_pk_add_f16 v4, v4, v5
	s_waitcnt vmcnt(0)
	v_pk_mul_f32 v[0:1], v[0:1], v[30:31]
	v_cvt_f16_f32_e32 v1, v1
	v_cvt_f16_f32_e32 v0, v0
	v_pack_b32_f16 v5, v0, v1
	buffer_load_dword v0, off, s[28:31], 0 offset:240 ; 4-byte Folded Reload
	buffer_load_dword v1, off, s[28:31], 0 offset:244 ; 4-byte Folded Reload
	v_pk_add_f16 v5, v127, v5
	s_waitcnt vmcnt(0)
	v_pk_mul_f32 v[0:1], v[0:1], v[30:31]
	v_cvt_f16_f32_e32 v6, v1
	v_cvt_f16_f32_e32 v7, v0
	buffer_load_dword v0, off, s[28:31], 0 offset:408 ; 4-byte Folded Reload
	buffer_load_dword v1, off, s[28:31], 0 offset:412 ; 4-byte Folded Reload
	;; [unrolled: 16-line block ×3, first 2 shown]
	v_pack_b32_f16 v6, v8, v7
	buffer_load_dword v7, off, s[28:31], 0 offset:48 ; 4-byte Folded Reload
	s_waitcnt vmcnt(1)
	v_pk_mul_f32 v[0:1], v[0:1], v[30:31]
	v_cvt_f16_f32_e32 v1, v1
	v_cvt_f16_f32_e32 v0, v0
	s_waitcnt vmcnt(0)
	v_pk_add_f16 v6, v7, v6
	v_pack_b32_f16 v7, v0, v1
	buffer_load_dword v0, off, s[28:31], 0 offset:400 ; 4-byte Folded Reload
	buffer_load_dword v1, off, s[28:31], 0 offset:404 ; 4-byte Folded Reload
	v_pk_add_f16 v6, v6, v7
	s_waitcnt vmcnt(0)
	v_pk_mul_f32 v[0:1], v[0:1], v[30:31]
	v_cvt_f16_f32_e32 v8, v1
	v_cvt_f16_f32_e32 v9, v0
	buffer_load_dword v0, off, s[28:31], 0 offset:96 ; 4-byte Folded Reload
	buffer_load_dword v1, off, s[28:31], 0 offset:100 ; 4-byte Folded Reload
	v_pack_b32_f16 v7, v9, v8
	v_pk_add_f16 v6, v6, v7
	s_waitcnt vmcnt(0)
	v_pk_mul_f32 v[0:1], v[0:1], v[30:31]
	v_cvt_f16_f32_e32 v1, v1
	v_cvt_f16_f32_e32 v0, v0
	v_pack_b32_f16 v7, v0, v1
	buffer_load_dword v0, off, s[28:31], 0 offset:224 ; 4-byte Folded Reload
	buffer_load_dword v1, off, s[28:31], 0 offset:228 ; 4-byte Folded Reload
	s_waitcnt vmcnt(0)
	v_pk_mul_f32 v[0:1], v[0:1], v[30:31]
	v_cvt_f16_f32_e32 v8, v1
	v_cvt_f16_f32_e32 v9, v0
	buffer_load_dword v0, off, s[28:31], 0 offset:392 ; 4-byte Folded Reload
	buffer_load_dword v1, off, s[28:31], 0 offset:396 ; 4-byte Folded Reload
	;; [unrolled: 1-line block ×3, first 2 shown]
	v_pack_b32_f16 v8, v9, v8
	s_waitcnt vmcnt(1)
	v_pk_mul_f32 v[0:1], v[0:1], v[30:31]
	v_cvt_f16_f32_e32 v1, v1
	v_cvt_f16_f32_e32 v0, v0
	s_waitcnt vmcnt(0)
	v_pk_add_f16 v7, v10, v7
	v_pk_add_f16 v7, v7, v8
	v_pack_b32_f16 v8, v0, v1
	buffer_load_dword v0, off, s[28:31], 0 offset:88 ; 4-byte Folded Reload
	buffer_load_dword v1, off, s[28:31], 0 offset:92 ; 4-byte Folded Reload
	v_pk_add_f16 v7, v7, v8
	s_waitcnt vmcnt(0)
	v_pk_mul_f32 v[0:1], v[0:1], v[30:31]
	v_cvt_f16_f32_e32 v9, v1
	v_cvt_f16_f32_e32 v10, v0
	buffer_load_dword v0, off, s[28:31], 0 offset:216 ; 4-byte Folded Reload
	buffer_load_dword v1, off, s[28:31], 0 offset:220 ; 4-byte Folded Reload
	v_pack_b32_f16 v8, v10, v9
	buffer_load_dword v9, off, s[28:31], 0 offset:32 ; 4-byte Folded Reload
	s_waitcnt vmcnt(1)
	v_pk_mul_f32 v[0:1], v[0:1], v[30:31]
	v_cvt_f16_f32_e32 v1, v1
	v_cvt_f16_f32_e32 v0, v0
	s_waitcnt vmcnt(0)
	v_pk_add_f16 v8, v9, v8
	v_pack_b32_f16 v9, v0, v1
	buffer_load_dword v0, off, s[28:31], 0 offset:384 ; 4-byte Folded Reload
	buffer_load_dword v1, off, s[28:31], 0 offset:388 ; 4-byte Folded Reload
	v_pk_add_f16 v8, v8, v9
	s_waitcnt vmcnt(0)
	v_pk_mul_f32 v[0:1], v[0:1], v[30:31]
	v_cvt_f16_f32_e32 v10, v1
	v_cvt_f16_f32_e32 v11, v0
	buffer_load_dword v0, off, s[28:31], 0 offset:80 ; 4-byte Folded Reload
	buffer_load_dword v1, off, s[28:31], 0 offset:84 ; 4-byte Folded Reload
	v_pack_b32_f16 v9, v11, v10
	v_pk_add_f16 v8, v8, v9
	s_waitcnt vmcnt(0)
	v_pk_mul_f32 v[0:1], v[0:1], v[30:31]
	v_cvt_f16_f32_e32 v1, v1
	v_cvt_f16_f32_e32 v0, v0
	v_pack_b32_f16 v9, v0, v1
	buffer_load_dword v0, off, s[28:31], 0 offset:208 ; 4-byte Folded Reload
	buffer_load_dword v1, off, s[28:31], 0 offset:212 ; 4-byte Folded Reload
	s_waitcnt vmcnt(0)
	v_pk_mul_f32 v[0:1], v[0:1], v[30:31]
	v_cvt_f16_f32_e32 v10, v1
	v_cvt_f16_f32_e32 v11, v0
	buffer_load_dword v0, off, s[28:31], 0 offset:376 ; 4-byte Folded Reload
	buffer_load_dword v1, off, s[28:31], 0 offset:380 ; 4-byte Folded Reload
	;; [unrolled: 1-line block ×3, first 2 shown]
	v_pack_b32_f16 v10, v11, v10
	s_waitcnt vmcnt(1)
	v_pk_mul_f32 v[0:1], v[0:1], v[30:31]
	v_cvt_f16_f32_e32 v1, v1
	v_cvt_f16_f32_e32 v0, v0
	s_waitcnt vmcnt(0)
	v_pk_add_f16 v9, v16, v9
	v_pk_add_f16 v9, v9, v10
	v_pack_b32_f16 v10, v0, v1
	buffer_load_dword v0, off, s[28:31], 0 offset:72 ; 4-byte Folded Reload
	buffer_load_dword v1, off, s[28:31], 0 offset:76 ; 4-byte Folded Reload
	v_pk_add_f16 v9, v9, v10
	s_waitcnt vmcnt(0)
	v_pk_mul_f32 v[0:1], v[0:1], v[30:31]
	v_cvt_f16_f32_e32 v11, v1
	v_cvt_f16_f32_e32 v16, v0
	buffer_load_dword v0, off, s[28:31], 0 offset:200 ; 4-byte Folded Reload
	buffer_load_dword v1, off, s[28:31], 0 offset:204 ; 4-byte Folded Reload
	v_pack_b32_f16 v10, v16, v11
	buffer_load_dword v11, off, s[28:31], 0 offset:12 ; 4-byte Folded Reload
	s_waitcnt vmcnt(1)
	v_pk_mul_f32 v[0:1], v[0:1], v[30:31]
	v_cvt_f16_f32_e32 v1, v1
	v_cvt_f16_f32_e32 v0, v0
	s_waitcnt vmcnt(0)
	v_pk_add_f16 v10, v11, v10
	v_pack_b32_f16 v11, v0, v1
	buffer_load_dword v0, off, s[28:31], 0 offset:368 ; 4-byte Folded Reload
	buffer_load_dword v1, off, s[28:31], 0 offset:372 ; 4-byte Folded Reload
	v_pk_add_f16 v10, v10, v11
	s_waitcnt vmcnt(0)
	v_pk_mul_f32 v[0:1], v[0:1], v[30:31]
	v_cvt_f16_f32_e32 v16, v1
	v_cvt_f16_f32_e32 v17, v0
	buffer_load_dword v0, off, s[28:31], 0 offset:64 ; 4-byte Folded Reload
	buffer_load_dword v1, off, s[28:31], 0 offset:68 ; 4-byte Folded Reload
	v_pack_b32_f16 v11, v17, v16
	v_pk_add_f16 v10, v10, v11
	s_waitcnt vmcnt(0)
	v_pk_mul_f32 v[0:1], v[0:1], v[30:31]
	v_cvt_f16_f32_e32 v1, v1
	v_cvt_f16_f32_e32 v0, v0
	v_pack_b32_f16 v11, v0, v1
	buffer_load_dword v0, off, s[28:31], 0 offset:192 ; 4-byte Folded Reload
	buffer_load_dword v1, off, s[28:31], 0 offset:196 ; 4-byte Folded Reload
	s_waitcnt vmcnt(0)
	v_pk_mul_f32 v[0:1], v[0:1], v[30:31]
	v_cvt_f16_f32_e32 v16, v1
	v_cvt_f16_f32_e32 v17, v0
	buffer_load_dword v0, off, s[28:31], 0 offset:360 ; 4-byte Folded Reload
	buffer_load_dword v1, off, s[28:31], 0 offset:364 ; 4-byte Folded Reload
	buffer_load_dword v18, off, s[28:31], 0 ; 4-byte Folded Reload
	v_pack_b32_f16 v16, v17, v16
	s_waitcnt vmcnt(1)
	v_pk_mul_f32 v[0:1], v[0:1], v[30:31]
	v_cvt_f16_f32_e32 v1, v1
	v_cvt_f16_f32_e32 v0, v0
	s_waitcnt vmcnt(0)
	v_pk_add_f16 v11, v18, v11
	v_pk_add_f16 v11, v11, v16
	v_pack_b32_f16 v16, v0, v1
	v_pk_mul_f32 v[0:1], v[40:41], v[30:31]
	v_cvt_f16_f32_e32 v17, v1
	v_cvt_f16_f32_e32 v18, v0
	v_pk_mul_f32 v[0:1], v[28:29], v[30:31]
	v_cvt_f16_f32_e32 v1, v1
	v_cvt_f16_f32_e32 v0, v0
	v_pk_add_f16 v11, v11, v16
	v_pack_b32_f16 v16, v18, v17
	v_pk_add_f16 v127, v5, v16
	v_pack_b32_f16 v5, v0, v1
	v_pk_mul_f32 v[0:1], v[52:53], v[30:31]
	v_cvt_f16_f32_e32 v16, v1
	v_cvt_f16_f32_e32 v17, v0
	v_pk_mul_f32 v[0:1], v[48:49], v[30:31]
	v_cvt_f16_f32_e32 v1, v1
	v_cvt_f16_f32_e32 v0, v0
	v_pk_add_f16 v18, v6, v5
	v_pack_b32_f16 v5, v17, v16
	;; [unrolled: 10-line block ×3, first 2 shown]
	v_pk_add_f16 v9, v9, v5
	v_pack_b32_f16 v5, v0, v1
	buffer_load_dword v0, off, s[28:31], 0 offset:480 ; 4-byte Folded Reload
	buffer_load_dword v1, off, s[28:31], 0 offset:484 ; 4-byte Folded Reload
	v_pk_add_f16 v8, v10, v5
	s_waitcnt vmcnt(0)
	v_pk_fma_f32 v[0:1], v[14:15], v[0:1], v[24:25] op_sel_hi:[1,0,1]
	v_pk_mul_f32 v[0:1], v[0:1], v[30:31]
	v_cvt_f16_f32_e32 v6, v1
	v_cvt_f16_f32_e32 v7, v0
	buffer_load_dword v0, off, s[28:31], 0 offset:448 ; 4-byte Folded Reload
	buffer_load_dword v1, off, s[28:31], 0 offset:452 ; 4-byte Folded Reload
	;; [unrolled: 1-line block ×4, first 2 shown]
	s_waitcnt vmcnt(0)
	v_pk_fma_f32 v[0:1], v[2:3], v[24:25], v[0:1] op_sel_hi:[1,0,1]
	buffer_load_dword v2, off, s[28:31], 0 offset:464 ; 4-byte Folded Reload
	buffer_load_dword v3, off, s[28:31], 0 offset:468 ; 4-byte Folded Reload
	s_waitcnt vmcnt(0)
	v_pk_fma_f32 v[0:1], v[12:13], v[2:3], v[0:1] op_sel_hi:[1,0,1]
	buffer_load_dword v2, off, s[28:31], 0 offset:472 ; 4-byte Folded Reload
	buffer_load_dword v3, off, s[28:31], 0 offset:476 ; 4-byte Folded Reload
	s_waitcnt vmcnt(0)
	v_pk_fma_f32 v[0:1], v[14:15], v[2:3], v[0:1] op_sel_hi:[1,0,1]
	v_pk_mul_f32 v[0:1], v[0:1], v[30:31]
	v_cvt_f16_f32_e32 v1, v1
	v_cvt_f16_f32_e32 v0, v0
	v_pack_b32_f16 v2, v7, v6
	v_pk_add_f16 v6, v11, v2
	v_pack_b32_f16 v0, v0, v1
	v_pk_add_f16 v7, v4, v0
	buffer_load_dword v0, off, s[28:31], 0 offset:352 ; 4-byte Folded Reload
	buffer_load_dword v1, off, s[28:31], 0 offset:356 ; 4-byte Folded Reload
	s_waitcnt vmcnt(1)
	v_add_co_u32_e32 v0, vcc, s0, v0
	s_waitcnt vmcnt(0)
	v_addc_co_u32_e32 v1, vcc, v1, v115, vcc
	s_cbranch_scc1 .LBB46_25
.LBB46_23:                              ; =>This Inner Loop Header: Depth=1
	s_cmp_lg_u32 s24, s5
	buffer_store_dword v6, off, s[28:31], 0 ; 4-byte Folded Spill
	buffer_store_dword v19, off, s[28:31], 0 offset:4 ; 4-byte Folded Spill
	buffer_store_dword v32, off, s[28:31], 0 offset:8 ; 4-byte Folded Spill
	;; [unrolled: 1-line block ×13, first 2 shown]
	s_cbranch_scc0 .LBB46_21
; %bb.24:                               ;   in Loop: Header=BB46_23 Depth=1
	s_waitcnt vmcnt(33)
	buffer_store_dword v20, off, s[28:31], 0 offset:56 ; 4-byte Folded Spill
	s_nop 0
	buffer_store_dword v21, off, s[28:31], 0 offset:60 ; 4-byte Folded Spill
	buffer_load_dword v8, off, s[28:31], 0 offset:504 ; 4-byte Folded Reload
	buffer_load_dword v9, off, s[28:31], 0 offset:508 ; 4-byte Folded Reload
	;; [unrolled: 1-line block ×16, first 2 shown]
	s_waitcnt vmcnt(0)
	v_mov_b32_e32 v11, v7
	s_branch .LBB46_22
.LBB46_25:
	buffer_load_dword v0, off, s[28:31], 0 offset:572 ; 4-byte Folded Reload
	buffer_load_dword v1, off, s[28:31], 0 offset:576 ; 4-byte Folded Reload
	s_mul_i32 s7, s7, s20
	s_mov_b64 s[0:1], 0
	s_waitcnt vmcnt(1)
	v_add_u32_e32 v0, s7, v0
	s_waitcnt vmcnt(0)
	v_ashrrev_i32_e32 v1, 31, v0
	v_lshlrev_b64 v[2:3], 1, v[0:1]
	v_mov_b32_e32 v1, s19
	v_add_co_u32_e32 v2, vcc, s18, v2
	v_addc_co_u32_e32 v3, vcc, v1, v3, vcc
	global_load_dword v5, v[2:3], off
.LBB46_26:                              ; =>This Inner Loop Header: Depth=1
	s_waitcnt vmcnt(0)
	v_pk_add_f16 v4, v113, v5
	global_atomic_cmpswap v1, v[2:3], v[4:5], off glc
	s_waitcnt vmcnt(0)
	v_cmp_eq_u32_e32 vcc, v5, v1
	s_or_b64 s[0:1], vcc, s[0:1]
	v_mov_b32_e32 v5, v1
	s_andn2_b64 exec, exec, s[0:1]
	s_cbranch_execnz .LBB46_26
; %bb.27:
	s_or_b64 exec, exec, s[0:1]
	global_load_dword v5, v[2:3], off offset:4
	s_mov_b64 s[0:1], 0
.LBB46_28:                              ; =>This Inner Loop Header: Depth=1
	s_waitcnt vmcnt(0)
	v_pk_add_f16 v4, v127, v5
	global_atomic_cmpswap v1, v[2:3], v[4:5], off offset:4 glc
	s_waitcnt vmcnt(0)
	v_cmp_eq_u32_e32 vcc, v5, v1
	s_or_b64 s[0:1], vcc, s[0:1]
	v_mov_b32_e32 v5, v1
	s_andn2_b64 exec, exec, s[0:1]
	s_cbranch_execnz .LBB46_28
; %bb.29:
	s_or_b64 exec, exec, s[0:1]
	v_add_u32_e32 v0, s20, v0
	v_ashrrev_i32_e32 v1, 31, v0
	v_lshlrev_b64 v[2:3], 1, v[0:1]
	v_mov_b32_e32 v1, s19
	v_add_co_u32_e32 v2, vcc, s18, v2
	v_addc_co_u32_e32 v3, vcc, v1, v3, vcc
	global_load_dword v5, v[2:3], off
	s_mov_b64 s[0:1], 0
.LBB46_30:                              ; =>This Inner Loop Header: Depth=1
	s_waitcnt vmcnt(0)
	v_pk_add_f16 v4, v42, v5
	global_atomic_cmpswap v1, v[2:3], v[4:5], off glc
	s_waitcnt vmcnt(0)
	v_cmp_eq_u32_e32 vcc, v5, v1
	s_or_b64 s[0:1], vcc, s[0:1]
	v_mov_b32_e32 v5, v1
	s_andn2_b64 exec, exec, s[0:1]
	s_cbranch_execnz .LBB46_30
; %bb.31:
	s_or_b64 exec, exec, s[0:1]
	global_load_dword v5, v[2:3], off offset:4
	s_mov_b64 s[0:1], 0
.LBB46_32:                              ; =>This Inner Loop Header: Depth=1
	s_waitcnt vmcnt(0)
	v_pk_add_f16 v4, v18, v5
	global_atomic_cmpswap v1, v[2:3], v[4:5], off offset:4 glc
	s_waitcnt vmcnt(0)
	v_cmp_eq_u32_e32 vcc, v5, v1
	s_or_b64 s[0:1], vcc, s[0:1]
	v_mov_b32_e32 v5, v1
	s_andn2_b64 exec, exec, s[0:1]
	s_cbranch_execnz .LBB46_32
; %bb.33:
	s_or_b64 exec, exec, s[0:1]
	v_add_u32_e32 v0, s20, v0
	v_ashrrev_i32_e32 v1, 31, v0
	v_lshlrev_b64 v[2:3], 1, v[0:1]
	v_mov_b32_e32 v1, s19
	v_add_co_u32_e32 v2, vcc, s18, v2
	v_addc_co_u32_e32 v3, vcc, v1, v3, vcc
	global_load_dword v5, v[2:3], off
	s_mov_b64 s[0:1], 0
	;; [unrolled: 34-line block ×7, first 2 shown]
.LBB46_54:                              ; =>This Inner Loop Header: Depth=1
	s_waitcnt vmcnt(0)
	v_pk_add_f16 v2, v32, v3
	global_atomic_cmpswap v2, v[0:1], v[2:3], off glc
	s_waitcnt vmcnt(0)
	v_cmp_eq_u32_e32 vcc, v3, v2
	s_or_b64 s[0:1], vcc, s[0:1]
	v_mov_b32_e32 v3, v2
	s_andn2_b64 exec, exec, s[0:1]
	s_cbranch_execnz .LBB46_54
; %bb.55:
	s_or_b64 exec, exec, s[0:1]
	global_load_dword v3, v[0:1], off offset:4
	s_mov_b64 s[0:1], 0
.LBB46_56:                              ; =>This Inner Loop Header: Depth=1
	s_waitcnt vmcnt(0)
	v_pk_add_f16 v2, v7, v3
	global_atomic_cmpswap v2, v[0:1], v[2:3], off offset:4 glc
	s_waitcnt vmcnt(0)
	v_cmp_eq_u32_e32 vcc, v3, v2
	s_or_b64 s[0:1], vcc, s[0:1]
	v_mov_b32_e32 v3, v2
	s_andn2_b64 exec, exec, s[0:1]
	s_cbranch_execnz .LBB46_56
.LBB46_57:
	s_endpgm
	.section	.rodata,"a",@progbits
	.p2align	6, 0x0
	.amdhsa_kernel _ZN4vllm4gptq33gemm_half_q_half_gptq_8bit_kernelILb1ELi8EEEvPK6__halfPKjS6_S4_PS2_iiiibPKi
		.amdhsa_group_segment_fixed_size 2048
		.amdhsa_private_segment_fixed_size 588
		.amdhsa_kernarg_size 72
		.amdhsa_user_sgpr_count 6
		.amdhsa_user_sgpr_private_segment_buffer 1
		.amdhsa_user_sgpr_dispatch_ptr 0
		.amdhsa_user_sgpr_queue_ptr 0
		.amdhsa_user_sgpr_kernarg_segment_ptr 1
		.amdhsa_user_sgpr_dispatch_id 0
		.amdhsa_user_sgpr_flat_scratch_init 0
		.amdhsa_user_sgpr_kernarg_preload_length 0
		.amdhsa_user_sgpr_kernarg_preload_offset 0
		.amdhsa_user_sgpr_private_segment_size 0
		.amdhsa_uses_dynamic_stack 0
		.amdhsa_system_sgpr_private_segment_wavefront_offset 1
		.amdhsa_system_sgpr_workgroup_id_x 1
		.amdhsa_system_sgpr_workgroup_id_y 1
		.amdhsa_system_sgpr_workgroup_id_z 1
		.amdhsa_system_sgpr_workgroup_info 0
		.amdhsa_system_vgpr_workitem_id 0
		.amdhsa_next_free_vgpr 128
		.amdhsa_next_free_sgpr 32
		.amdhsa_accum_offset 128
		.amdhsa_reserve_vcc 1
		.amdhsa_reserve_flat_scratch 0
		.amdhsa_float_round_mode_32 0
		.amdhsa_float_round_mode_16_64 0
		.amdhsa_float_denorm_mode_32 3
		.amdhsa_float_denorm_mode_16_64 3
		.amdhsa_dx10_clamp 1
		.amdhsa_ieee_mode 1
		.amdhsa_fp16_overflow 0
		.amdhsa_tg_split 0
		.amdhsa_exception_fp_ieee_invalid_op 0
		.amdhsa_exception_fp_denorm_src 0
		.amdhsa_exception_fp_ieee_div_zero 0
		.amdhsa_exception_fp_ieee_overflow 0
		.amdhsa_exception_fp_ieee_underflow 0
		.amdhsa_exception_fp_ieee_inexact 0
		.amdhsa_exception_int_div_zero 0
	.end_amdhsa_kernel
	.section	.text._ZN4vllm4gptq33gemm_half_q_half_gptq_8bit_kernelILb1ELi8EEEvPK6__halfPKjS6_S4_PS2_iiiibPKi,"axG",@progbits,_ZN4vllm4gptq33gemm_half_q_half_gptq_8bit_kernelILb1ELi8EEEvPK6__halfPKjS6_S4_PS2_iiiibPKi,comdat
.Lfunc_end46:
	.size	_ZN4vllm4gptq33gemm_half_q_half_gptq_8bit_kernelILb1ELi8EEEvPK6__halfPKjS6_S4_PS2_iiiibPKi, .Lfunc_end46-_ZN4vllm4gptq33gemm_half_q_half_gptq_8bit_kernelILb1ELi8EEEvPK6__halfPKjS6_S4_PS2_iiiibPKi
                                        ; -- End function
	.section	.AMDGPU.csdata,"",@progbits
; Kernel info:
; codeLenInByte = 18616
; NumSgprs: 36
; NumVgprs: 128
; NumAgprs: 0
; TotalNumVgprs: 128
; ScratchSize: 588
; MemoryBound: 0
; FloatMode: 240
; IeeeMode: 1
; LDSByteSize: 2048 bytes/workgroup (compile time only)
; SGPRBlocks: 4
; VGPRBlocks: 15
; NumSGPRsForWavesPerEU: 36
; NumVGPRsForWavesPerEU: 128
; AccumOffset: 128
; Occupancy: 4
; WaveLimiterHint : 0
; COMPUTE_PGM_RSRC2:SCRATCH_EN: 1
; COMPUTE_PGM_RSRC2:USER_SGPR: 6
; COMPUTE_PGM_RSRC2:TRAP_HANDLER: 0
; COMPUTE_PGM_RSRC2:TGID_X_EN: 1
; COMPUTE_PGM_RSRC2:TGID_Y_EN: 1
; COMPUTE_PGM_RSRC2:TGID_Z_EN: 1
; COMPUTE_PGM_RSRC2:TIDIG_COMP_CNT: 0
; COMPUTE_PGM_RSRC3_GFX90A:ACCUM_OFFSET: 31
; COMPUTE_PGM_RSRC3_GFX90A:TG_SPLIT: 0
	.section	.text._ZN4vllm4gptq23reconstruct_gptq_kernelINS0_17MatrixView_q4_rowELi4EEEvPKjPK6__halfS4_PKiiiibPS5_,"axG",@progbits,_ZN4vllm4gptq23reconstruct_gptq_kernelINS0_17MatrixView_q4_rowELi4EEEvPKjPK6__halfS4_PKiiiibPS5_,comdat
	.protected	_ZN4vllm4gptq23reconstruct_gptq_kernelINS0_17MatrixView_q4_rowELi4EEEvPKjPK6__halfS4_PKiiiibPS5_ ; -- Begin function _ZN4vllm4gptq23reconstruct_gptq_kernelINS0_17MatrixView_q4_rowELi4EEEvPKjPK6__halfS4_PKiiiibPS5_
	.globl	_ZN4vllm4gptq23reconstruct_gptq_kernelINS0_17MatrixView_q4_rowELi4EEEvPKjPK6__halfS4_PKiiiibPS5_
	.p2align	8
	.type	_ZN4vllm4gptq23reconstruct_gptq_kernelINS0_17MatrixView_q4_rowELi4EEEvPKjPK6__halfS4_PKiiiibPS5_,@function
_ZN4vllm4gptq23reconstruct_gptq_kernelINS0_17MatrixView_q4_rowELi4EEEvPKjPK6__halfS4_PKiiiibPS5_: ; @_ZN4vllm4gptq23reconstruct_gptq_kernelINS0_17MatrixView_q4_rowELi4EEEvPKjPK6__halfS4_PKiiiibPS5_
; %bb.0:
	s_load_dword s0, s[4:5], 0x24
	v_lshl_add_u32 v3, s6, 7, v0
	s_waitcnt lgkmcnt(0)
	v_cmp_gt_u32_e32 vcc, s0, v3
	s_and_saveexec_b64 s[2:3], vcc
	s_cbranch_execz .LBB47_2
; %bb.1:
	s_load_dword s1, s[4:5], 0x2c
	s_load_dwordx8 s[8:15], s[4:5], 0x0
	s_mul_i32 s2, s7, s0
	v_add_u32_e32 v4, s2, v3
	v_mov_b32_e32 v5, 0
	s_waitcnt lgkmcnt(0)
	s_bitcmp1_b32 s1, 0
	s_cselect_b64 s[2:3], -1, 0
	s_lshl_b32 s1, s7, 5
	s_load_dwordx8 s[16:23], s[14:15], s1 offset:0x0
	v_lshlrev_b64 v[4:5], 2, v[4:5]
	v_mov_b32_e32 v1, s9
	v_add_co_u32_e32 v4, vcc, s8, v4
	s_waitcnt lgkmcnt(0)
	s_mul_i32 s6, s16, s0
	v_addc_co_u32_e32 v5, vcc, v1, v5, vcc
	v_ashrrev_i32_e32 v1, 31, v3
	s_ashr_i32 s1, s6, 31
	v_lshrrev_b32_e32 v1, 29, v1
	s_lshr_b32 s1, s1, 29
	v_add_u32_e32 v1, v3, v1
	s_add_i32 s1, s6, s1
	v_ashrrev_i32_e32 v7, 3, v1
	s_ashr_i32 s1, s1, 3
	global_load_dword v2, v[4:5], off
	v_add_u32_e32 v4, s1, v7
	s_mul_i32 s8, s17, s0
	v_ashrrev_i32_e32 v5, 31, v4
	v_lshlrev_b64 v[4:5], 2, v[4:5]
	s_ashr_i32 s1, s8, 31
	v_mov_b32_e32 v8, s13
	v_add_co_u32_e32 v4, vcc, s12, v4
	s_lshr_b32 s1, s1, 29
	v_addc_co_u32_e32 v5, vcc, v8, v5, vcc
	s_add_i32 s1, s8, s1
	global_load_dword v15, v[4:5], off
	s_ashr_i32 s1, s1, 3
	v_add_u32_e32 v4, s1, v7
	v_ashrrev_i32_e32 v5, 31, v4
	v_lshlrev_b64 v[4:5], 2, v[4:5]
	v_add_co_u32_e32 v4, vcc, s12, v4
	v_addc_co_u32_e32 v5, vcc, v8, v5, vcc
	global_load_dword v18, v[4:5], off
	s_load_dwordx2 s[4:5], s[4:5], 0x30
	v_lshlrev_b32_e32 v0, 2, v0
	v_and_b32_e32 v4, 28, v0
	v_add_u32_e32 v12, s6, v3
	v_ashrrev_i32_e32 v13, 31, v12
	s_waitcnt lgkmcnt(0)
	v_mov_b32_e32 v10, s5
	s_lshl_b32 s5, s7, 3
	s_and_b32 s5, s5, 0x3ffffff8
	s_mul_i32 s5, s5, s0
	v_add_u32_e32 v0, s5, v3
	v_ashrrev_i32_e32 v1, 31, v0
	v_lshlrev_b64 v[0:1], 1, v[0:1]
	v_add_co_u32_e32 v0, vcc, s4, v0
	s_ashr_i32 s1, s0, 31
	s_xor_b64 s[2:3], s[2:3], -1
	v_addc_co_u32_e32 v1, vcc, v10, v1, vcc
	v_add_u32_e32 v10, s8, v3
	v_lshlrev_b64 v[12:13], 1, v[12:13]
	v_mov_b32_e32 v9, s11
	v_cndmask_b32_e64 v6, 0, 1, s[2:3]
	s_lshl_b64 s[2:3], s[0:1], 1
	s_mul_i32 s1, s18, s0
	v_ashrrev_i32_e32 v11, 31, v10
	v_add_co_u32_e32 v12, vcc, s10, v12
	v_add_u32_e32 v16, s1, v3
	v_lshlrev_b64 v[10:11], 1, v[10:11]
	v_addc_co_u32_e32 v13, vcc, v9, v13, vcc
	v_ashrrev_i32_e32 v17, 31, v16
	v_add_co_u32_e32 v10, vcc, s10, v10
	v_lshlrev_b64 v[16:17], 1, v[16:17]
	v_addc_co_u32_e32 v11, vcc, v9, v11, vcc
	v_add_co_u32_e32 v16, vcc, s10, v16
	v_addc_co_u32_e32 v17, vcc, v9, v17, vcc
	global_load_ushort v19, v[12:13], off
	global_load_ushort v20, v[10:11], off
	;; [unrolled: 1-line block ×3, first 2 shown]
	s_ashr_i32 s4, s1, 31
	s_lshr_b32 s4, s4, 29
	s_add_i32 s1, s1, s4
	s_ashr_i32 s1, s1, 3
	v_mov_b32_e32 v5, s3
	s_mul_i32 s3, s19, s0
	v_add_u32_e32 v14, s3, v3
	s_waitcnt vmcnt(5)
	v_and_b32_e32 v10, 15, v2
	v_sub_u32_e32 v10, v10, v6
	v_bfe_u32 v11, v2, 4, 4
	v_sub_u32_e32 v11, v11, v6
	s_waitcnt vmcnt(4)
	v_bfe_u32 v12, v15, v4, 4
	v_sub_u32_e32 v10, v10, v12
	v_cvt_f32_i32_e32 v10, v10
	v_ashrrev_i32_e32 v15, 31, v14
	v_cvt_f16_f32_e32 v17, v10
	v_add_u32_e32 v10, s1, v7
	s_ashr_i32 s1, s3, 31
	s_waitcnt vmcnt(3)
	v_bfe_u32 v12, v18, v4, 4
	v_sub_u32_e32 v16, v11, v12
	v_ashrrev_i32_e32 v11, 31, v10
	v_lshlrev_b64 v[10:11], 2, v[10:11]
	v_add_co_u32_e32 v10, vcc, s12, v10
	v_addc_co_u32_e32 v11, vcc, v8, v11, vcc
	global_load_dword v18, v[10:11], off
	v_lshlrev_b64 v[10:11], 1, v[14:15]
	s_lshr_b32 s1, s1, 29
	v_add_co_u32_e32 v10, vcc, s10, v10
	s_add_i32 s3, s3, s1
	v_addc_co_u32_e32 v11, vcc, v9, v11, vcc
	s_ashr_i32 s1, s3, 3
	global_load_ushort v14, v[10:11], off
	v_add_u32_e32 v10, s1, v7
	v_ashrrev_i32_e32 v11, 31, v10
	s_mul_i32 s1, s20, s0
	v_lshlrev_b64 v[10:11], 2, v[10:11]
	v_add_u32_e32 v12, s1, v3
	v_add_co_u32_e32 v10, vcc, s12, v10
	v_ashrrev_i32_e32 v13, 31, v12
	s_ashr_i32 s4, s1, 31
	v_addc_co_u32_e32 v11, vcc, v8, v11, vcc
	v_lshlrev_b64 v[12:13], 1, v[12:13]
	s_lshr_b32 s4, s4, 29
	global_load_dword v15, v[10:11], off
	v_add_co_u32_e32 v12, vcc, s10, v12
	s_add_i32 s1, s1, s4
	v_addc_co_u32_e32 v13, vcc, v9, v13, vcc
	s_ashr_i32 s1, s1, 3
	global_load_ushort v22, v[12:13], off
	v_add_u32_e32 v12, s1, v7
	s_mul_i32 s3, s21, s0
	v_ashrrev_i32_e32 v13, 31, v12
	v_add_u32_e32 v10, s3, v3
	v_lshlrev_b64 v[12:13], 2, v[12:13]
	v_add_co_u32_e32 v12, vcc, s12, v12
	v_ashrrev_i32_e32 v11, 31, v10
	s_ashr_i32 s1, s3, 31
	v_addc_co_u32_e32 v13, vcc, v8, v13, vcc
	v_lshlrev_b64 v[10:11], 1, v[10:11]
	s_lshr_b32 s1, s1, 29
	v_add_co_u32_e32 v10, vcc, s10, v10
	s_add_i32 s3, s3, s1
	v_addc_co_u32_e32 v11, vcc, v9, v11, vcc
	s_ashr_i32 s1, s3, 3
	global_load_ushort v24, v[10:11], off
	v_add_u32_e32 v10, s1, v7
	v_ashrrev_i32_e32 v11, 31, v10
	v_lshlrev_b64 v[10:11], 2, v[10:11]
	global_load_dword v23, v[12:13], off
	v_add_co_u32_e32 v10, vcc, s12, v10
	v_addc_co_u32_e32 v11, vcc, v8, v11, vcc
	global_load_dword v25, v[10:11], off
	s_mul_i32 s1, s22, s0
	s_ashr_i32 s3, s1, 31
	s_lshr_b32 s3, s3, 29
	s_add_i32 s3, s1, s3
	s_ashr_i32 s3, s3, 3
	s_mul_i32 s0, s23, s0
	v_add_u32_e32 v10, s3, v7
	v_ashrrev_i32_e32 v11, 31, v10
	s_ashr_i32 s3, s0, 31
	v_lshlrev_b64 v[10:11], 2, v[10:11]
	s_lshr_b32 s3, s3, 29
	v_add_co_u32_e32 v10, vcc, s12, v10
	s_add_i32 s3, s0, s3
	v_addc_co_u32_e32 v11, vcc, v8, v11, vcc
	s_ashr_i32 s3, s3, 3
	global_load_dword v26, v[10:11], off
	v_add_u32_e32 v10, s3, v7
	v_ashrrev_i32_e32 v11, 31, v10
	v_lshlrev_b64 v[10:11], 2, v[10:11]
	v_add_co_u32_e32 v10, vcc, s12, v10
	v_addc_co_u32_e32 v11, vcc, v8, v11, vcc
	global_load_dword v7, v[10:11], off
	v_add_u32_e32 v12, s1, v3
	v_ashrrev_i32_e32 v13, 31, v12
	v_add_u32_e32 v10, s0, v3
	v_lshlrev_b64 v[12:13], 1, v[12:13]
	v_add_co_u32_e32 v12, vcc, s10, v12
	v_ashrrev_i32_e32 v11, 31, v10
	v_addc_co_u32_e32 v13, vcc, v9, v13, vcc
	v_lshlrev_b64 v[10:11], 1, v[10:11]
	v_add_co_u32_e32 v8, vcc, s10, v10
	global_load_ushort v12, v[12:13], off
	v_addc_co_u32_e32 v9, vcc, v9, v11, vcc
	global_load_ushort v10, v[8:9], off
	v_cvt_f32_i32_e32 v16, v16
	v_add_co_u32_e32 v8, vcc, s2, v0
	s_waitcnt vmcnt(13)
	v_mul_f16_e32 v11, v19, v17
	v_cvt_f16_f32_e32 v3, v16
	v_addc_co_u32_e32 v9, vcc, v1, v5, vcc
	global_store_short v[0:1], v11, off
	s_waitcnt vmcnt(13)
	v_mul_f16_e32 v0, v20, v3
	global_store_short v[8:9], v0, off
	v_bfe_u32 v0, v2, 8, 4
	v_sub_u32_e32 v0, v0, v6
	s_waitcnt vmcnt(12)
	v_bfe_u32 v1, v18, v4, 4
	v_sub_u32_e32 v0, v0, v1
	v_bfe_u32 v1, v2, 12, 4
	v_cvt_f32_i32_e32 v3, v0
	s_waitcnt vmcnt(10)
	v_bfe_u32 v0, v15, v4, 4
	v_sub_u32_e32 v1, v1, v6
	v_sub_u32_e32 v0, v1, v0
	v_cvt_f32_i32_e32 v11, v0
	v_cvt_f16_f32_e32 v3, v3
	v_add_co_u32_e32 v0, vcc, s2, v8
	v_cvt_f16_f32_e32 v11, v11
	v_addc_co_u32_e32 v1, vcc, v9, v5, vcc
	v_add_co_u32_e32 v8, vcc, s2, v0
	v_mul_f16_e32 v3, v21, v3
	v_addc_co_u32_e32 v9, vcc, v1, v5, vcc
	global_store_short v[0:1], v3, off
	v_mul_f16_e32 v0, v14, v11
	global_store_short v[8:9], v0, off
	v_bfe_u32 v0, v2, 16, 4
	v_sub_u32_e32 v0, v0, v6
	s_waitcnt vmcnt(9)
	v_bfe_u32 v1, v23, v4, 4
	v_sub_u32_e32 v0, v0, v1
	v_bfe_u32 v1, v2, 20, 4
	v_cvt_f32_i32_e32 v3, v0
	s_waitcnt vmcnt(8)
	v_bfe_u32 v0, v25, v4, 4
	v_sub_u32_e32 v1, v1, v6
	v_sub_u32_e32 v0, v1, v0
	v_cvt_f32_i32_e32 v11, v0
	v_cvt_f16_f32_e32 v3, v3
	v_add_co_u32_e32 v0, vcc, s2, v8
	v_cvt_f16_f32_e32 v11, v11
	v_addc_co_u32_e32 v1, vcc, v9, v5, vcc
	v_add_co_u32_e32 v8, vcc, s2, v0
	v_mul_f16_e32 v3, v22, v3
	v_addc_co_u32_e32 v9, vcc, v1, v5, vcc
	global_store_short v[0:1], v3, off
	v_mul_f16_e32 v0, v24, v11
	global_store_short v[8:9], v0, off
	v_bfe_u32 v0, v2, 24, 4
	v_sub_u32_e32 v0, v0, v6
	s_waitcnt vmcnt(9)
	v_bfe_u32 v1, v26, v4, 4
	v_sub_u32_e32 v0, v0, v1
	v_lshrrev_b32_e32 v1, 28, v2
	v_cvt_f32_i32_e32 v3, v0
	s_waitcnt vmcnt(8)
	v_bfe_u32 v0, v7, v4, 4
	v_sub_u32_e32 v1, v1, v6
	v_sub_u32_e32 v0, v1, v0
	v_cvt_f32_i32_e32 v2, v0
	v_cvt_f16_f32_e32 v4, v3
	v_add_co_u32_e32 v0, vcc, s2, v8
	v_cvt_f16_f32_e32 v6, v2
	v_addc_co_u32_e32 v1, vcc, v9, v5, vcc
	v_add_co_u32_e32 v2, vcc, s2, v0
	s_waitcnt vmcnt(7)
	v_mul_f16_e32 v4, v12, v4
	v_addc_co_u32_e32 v3, vcc, v1, v5, vcc
	global_store_short v[0:1], v4, off
	s_waitcnt vmcnt(7)
	v_mul_f16_e32 v0, v10, v6
	global_store_short v[2:3], v0, off
.LBB47_2:
	s_endpgm
	.section	.rodata,"a",@progbits
	.p2align	6, 0x0
	.amdhsa_kernel _ZN4vllm4gptq23reconstruct_gptq_kernelINS0_17MatrixView_q4_rowELi4EEEvPKjPK6__halfS4_PKiiiibPS5_
		.amdhsa_group_segment_fixed_size 0
		.amdhsa_private_segment_fixed_size 0
		.amdhsa_kernarg_size 56
		.amdhsa_user_sgpr_count 6
		.amdhsa_user_sgpr_private_segment_buffer 1
		.amdhsa_user_sgpr_dispatch_ptr 0
		.amdhsa_user_sgpr_queue_ptr 0
		.amdhsa_user_sgpr_kernarg_segment_ptr 1
		.amdhsa_user_sgpr_dispatch_id 0
		.amdhsa_user_sgpr_flat_scratch_init 0
		.amdhsa_user_sgpr_kernarg_preload_length 0
		.amdhsa_user_sgpr_kernarg_preload_offset 0
		.amdhsa_user_sgpr_private_segment_size 0
		.amdhsa_uses_dynamic_stack 0
		.amdhsa_system_sgpr_private_segment_wavefront_offset 0
		.amdhsa_system_sgpr_workgroup_id_x 1
		.amdhsa_system_sgpr_workgroup_id_y 1
		.amdhsa_system_sgpr_workgroup_id_z 0
		.amdhsa_system_sgpr_workgroup_info 0
		.amdhsa_system_vgpr_workitem_id 0
		.amdhsa_next_free_vgpr 27
		.amdhsa_next_free_sgpr 24
		.amdhsa_accum_offset 28
		.amdhsa_reserve_vcc 1
		.amdhsa_reserve_flat_scratch 0
		.amdhsa_float_round_mode_32 0
		.amdhsa_float_round_mode_16_64 0
		.amdhsa_float_denorm_mode_32 3
		.amdhsa_float_denorm_mode_16_64 3
		.amdhsa_dx10_clamp 1
		.amdhsa_ieee_mode 1
		.amdhsa_fp16_overflow 0
		.amdhsa_tg_split 0
		.amdhsa_exception_fp_ieee_invalid_op 0
		.amdhsa_exception_fp_denorm_src 0
		.amdhsa_exception_fp_ieee_div_zero 0
		.amdhsa_exception_fp_ieee_overflow 0
		.amdhsa_exception_fp_ieee_underflow 0
		.amdhsa_exception_fp_ieee_inexact 0
		.amdhsa_exception_int_div_zero 0
	.end_amdhsa_kernel
	.section	.text._ZN4vllm4gptq23reconstruct_gptq_kernelINS0_17MatrixView_q4_rowELi4EEEvPKjPK6__halfS4_PKiiiibPS5_,"axG",@progbits,_ZN4vllm4gptq23reconstruct_gptq_kernelINS0_17MatrixView_q4_rowELi4EEEvPKjPK6__halfS4_PKiiiibPS5_,comdat
.Lfunc_end47:
	.size	_ZN4vllm4gptq23reconstruct_gptq_kernelINS0_17MatrixView_q4_rowELi4EEEvPKjPK6__halfS4_PKiiiibPS5_, .Lfunc_end47-_ZN4vllm4gptq23reconstruct_gptq_kernelINS0_17MatrixView_q4_rowELi4EEEvPKjPK6__halfS4_PKiiiibPS5_
                                        ; -- End function
	.section	.AMDGPU.csdata,"",@progbits
; Kernel info:
; codeLenInByte = 1356
; NumSgprs: 28
; NumVgprs: 27
; NumAgprs: 0
; TotalNumVgprs: 27
; ScratchSize: 0
; MemoryBound: 0
; FloatMode: 240
; IeeeMode: 1
; LDSByteSize: 0 bytes/workgroup (compile time only)
; SGPRBlocks: 3
; VGPRBlocks: 3
; NumSGPRsForWavesPerEU: 28
; NumVGPRsForWavesPerEU: 27
; AccumOffset: 28
; Occupancy: 8
; WaveLimiterHint : 0
; COMPUTE_PGM_RSRC2:SCRATCH_EN: 0
; COMPUTE_PGM_RSRC2:USER_SGPR: 6
; COMPUTE_PGM_RSRC2:TRAP_HANDLER: 0
; COMPUTE_PGM_RSRC2:TGID_X_EN: 1
; COMPUTE_PGM_RSRC2:TGID_Y_EN: 1
; COMPUTE_PGM_RSRC2:TGID_Z_EN: 0
; COMPUTE_PGM_RSRC2:TIDIG_COMP_CNT: 0
; COMPUTE_PGM_RSRC3_GFX90A:ACCUM_OFFSET: 6
; COMPUTE_PGM_RSRC3_GFX90A:TG_SPLIT: 0
	.section	.text._ZN4vllm4gptq23reconstruct_gptq_kernelINS0_17MatrixView_q2_rowELi2EEEvPKjPK6__halfS4_PKiiiibPS5_,"axG",@progbits,_ZN4vllm4gptq23reconstruct_gptq_kernelINS0_17MatrixView_q2_rowELi2EEEvPKjPK6__halfS4_PKiiiibPS5_,comdat
	.protected	_ZN4vllm4gptq23reconstruct_gptq_kernelINS0_17MatrixView_q2_rowELi2EEEvPKjPK6__halfS4_PKiiiibPS5_ ; -- Begin function _ZN4vllm4gptq23reconstruct_gptq_kernelINS0_17MatrixView_q2_rowELi2EEEvPKjPK6__halfS4_PKiiiibPS5_
	.globl	_ZN4vllm4gptq23reconstruct_gptq_kernelINS0_17MatrixView_q2_rowELi2EEEvPKjPK6__halfS4_PKiiiibPS5_
	.p2align	8
	.type	_ZN4vllm4gptq23reconstruct_gptq_kernelINS0_17MatrixView_q2_rowELi2EEEvPKjPK6__halfS4_PKiiiibPS5_,@function
_ZN4vllm4gptq23reconstruct_gptq_kernelINS0_17MatrixView_q2_rowELi2EEEvPKjPK6__halfS4_PKiiiibPS5_: ; @_ZN4vllm4gptq23reconstruct_gptq_kernelINS0_17MatrixView_q2_rowELi2EEEvPKjPK6__halfS4_PKiiiibPS5_
; %bb.0:
	s_load_dword s24, s[4:5], 0x24
	v_lshl_add_u32 v2, s6, 7, v0
	s_waitcnt lgkmcnt(0)
	v_cmp_gt_u32_e32 vcc, s24, v2
	s_and_saveexec_b64 s[0:1], vcc
	s_cbranch_execz .LBB48_2
; %bb.1:
	s_load_dwordx8 s[16:23], s[4:5], 0x0
	s_mul_i32 s0, s7, s24
	v_mov_b32_e32 v5, 0
	v_add_u32_e32 v4, s0, v2
	v_lshlrev_b64 v[4:5], 2, v[4:5]
	s_waitcnt lgkmcnt(0)
	v_mov_b32_e32 v1, s17
	v_add_co_u32_e32 v4, vcc, s16, v4
	v_addc_co_u32_e32 v5, vcc, v1, v5, vcc
	global_load_dword v3, v[4:5], off
	s_load_dwordx2 s[16:17], s[4:5], 0x30
	s_load_dword s0, s[4:5], 0x2c
	s_mov_b32 s1, 0
	v_lshlrev_b32_e32 v0, 1, v0
	v_ashrrev_i32_e32 v1, 31, v2
	v_and_b32_e32 v4, 30, v0
	s_waitcnt lgkmcnt(0)
	s_bitcmp1_b32 s0, 0
	s_cselect_b64 s[2:3], -1, 0
	s_lshl_b32 s0, s7, 4
	s_and_b32 s0, s0, 0x7ffffff0
	s_xor_b64 s[2:3], s[2:3], -1
	s_ashr_i32 s25, s24, 31
	v_cndmask_b32_e64 v7, 0, 1, s[2:3]
	s_mul_i32 s2, s0, s24
	s_lshl_b64 s[0:1], s[0:1], 2
	v_lshrrev_b32_e32 v0, 28, v1
	s_add_u32 s0, s22, s0
	v_add_u32_e32 v0, v2, v0
	s_addc_u32 s1, s23, s1
	v_ashrrev_i32_e32 v5, 4, v0
	v_add_u32_e32 v0, s2, v2
	s_load_dwordx16 s[0:15], s[0:1], 0x0
	v_ashrrev_i32_e32 v1, 31, v0
	v_lshlrev_b64 v[0:1], 1, v[0:1]
	v_mov_b32_e32 v9, s17
	v_add_co_u32_e32 v0, vcc, s16, v0
	s_waitcnt lgkmcnt(0)
	s_mul_i32 s0, s0, s24
	v_add_u32_e32 v12, s0, v2
	s_mul_i32 s1, s1, s24
	v_ashrrev_i32_e32 v13, 31, v12
	v_addc_co_u32_e32 v1, vcc, v9, v1, vcc
	v_add_u32_e32 v10, s1, v2
	v_lshlrev_b64 v[12:13], 1, v[12:13]
	v_mov_b32_e32 v6, s19
	s_ashr_i32 s16, s0, 31
	v_ashrrev_i32_e32 v11, 31, v10
	v_add_co_u32_e32 v12, vcc, s18, v12
	s_lshr_b32 s16, s16, 28
	v_lshlrev_b64 v[10:11], 1, v[10:11]
	v_addc_co_u32_e32 v13, vcc, v6, v13, vcc
	s_ashr_i32 s17, s1, 31
	s_add_i32 s0, s0, s16
	v_add_co_u32_e32 v10, vcc, s18, v10
	s_lshr_b32 s17, s17, 28
	s_ashr_i32 s0, s0, 4
	v_addc_co_u32_e32 v11, vcc, v6, v11, vcc
	s_add_i32 s1, s1, s17
	global_load_ushort v16, v[12:13], off
	global_load_ushort v17, v[10:11], off
	v_add_u32_e32 v12, s0, v5
	s_ashr_i32 s1, s1, 4
	v_ashrrev_i32_e32 v13, 31, v12
	v_add_u32_e32 v10, s1, v5
	v_lshlrev_b64 v[12:13], 2, v[12:13]
	v_mov_b32_e32 v8, s21
	v_ashrrev_i32_e32 v11, 31, v10
	v_add_co_u32_e32 v12, vcc, s20, v12
	v_lshlrev_b64 v[10:11], 2, v[10:11]
	v_addc_co_u32_e32 v13, vcc, v8, v13, vcc
	s_mul_i32 s2, s2, s24
	v_add_co_u32_e32 v10, vcc, s20, v10
	v_addc_co_u32_e32 v11, vcc, v8, v11, vcc
	global_load_dword v9, v[12:13], off
	global_load_dword v18, v[10:11], off
	v_add_u32_e32 v10, s2, v2
	v_ashrrev_i32_e32 v11, 31, v10
	s_ashr_i32 s0, s2, 31
	v_lshlrev_b64 v[10:11], 1, v[10:11]
	s_lshr_b32 s0, s0, 28
	v_add_co_u32_e32 v10, vcc, s18, v10
	s_add_i32 s2, s2, s0
	v_addc_co_u32_e32 v11, vcc, v6, v11, vcc
	s_ashr_i32 s0, s2, 4
	global_load_ushort v19, v[10:11], off
	v_add_u32_e32 v10, s0, v5
	v_ashrrev_i32_e32 v11, 31, v10
	s_mul_i32 s3, s3, s24
	v_lshlrev_b64 v[10:11], 2, v[10:11]
	v_add_u32_e32 v14, s3, v2
	v_add_co_u32_e32 v10, vcc, s20, v10
	v_addc_co_u32_e32 v11, vcc, v8, v11, vcc
	v_ashrrev_i32_e32 v15, 31, v14
	s_ashr_i32 s0, s3, 31
	global_load_dword v20, v[10:11], off
	v_lshlrev_b64 v[10:11], 1, v[14:15]
	s_lshr_b32 s0, s0, 28
	v_add_co_u32_e32 v10, vcc, s18, v10
	s_add_i32 s3, s3, s0
	v_addc_co_u32_e32 v11, vcc, v6, v11, vcc
	s_ashr_i32 s0, s3, 4
	global_load_ushort v14, v[10:11], off
	v_add_u32_e32 v10, s0, v5
	v_ashrrev_i32_e32 v11, 31, v10
	v_lshlrev_b64 v[10:11], 2, v[10:11]
	v_add_co_u32_e32 v10, vcc, s20, v10
	s_mul_i32 s0, s4, s24
	v_addc_co_u32_e32 v11, vcc, v8, v11, vcc
	s_ashr_i32 s2, s0, 31
	global_load_dword v15, v[10:11], off
	s_lshr_b32 s2, s2, 28
	s_add_i32 s2, s0, s2
	s_ashr_i32 s2, s2, 4
	s_mul_i32 s1, s5, s24
	v_add_u32_e32 v10, s2, v5
	v_ashrrev_i32_e32 v11, 31, v10
	s_ashr_i32 s2, s1, 31
	v_lshlrev_b64 v[10:11], 2, v[10:11]
	s_lshr_b32 s2, s2, 28
	v_add_co_u32_e32 v10, vcc, s20, v10
	s_add_i32 s2, s1, s2
	v_addc_co_u32_e32 v11, vcc, v8, v11, vcc
	s_ashr_i32 s2, s2, 4
	global_load_dword v21, v[10:11], off
	v_add_u32_e32 v10, s2, v5
	v_ashrrev_i32_e32 v11, 31, v10
	v_lshlrev_b64 v[10:11], 2, v[10:11]
	v_add_co_u32_e32 v10, vcc, s20, v10
	v_addc_co_u32_e32 v11, vcc, v8, v11, vcc
	global_load_dword v22, v[10:11], off
	s_waitcnt vmcnt(10)
	v_and_b32_e32 v12, 3, v3
	v_sub_u32_e32 v23, v12, v7
	v_add_u32_e32 v12, s0, v2
	v_ashrrev_i32_e32 v13, 31, v12
	v_add_u32_e32 v10, s1, v2
	v_lshlrev_b64 v[12:13], 1, v[12:13]
	v_add_co_u32_e32 v12, vcc, s18, v12
	v_ashrrev_i32_e32 v11, 31, v10
	v_addc_co_u32_e32 v13, vcc, v6, v13, vcc
	v_lshlrev_b64 v[10:11], 1, v[10:11]
	v_add_co_u32_e32 v10, vcc, s18, v10
	global_load_ushort v12, v[12:13], off
	v_addc_co_u32_e32 v11, vcc, v6, v11, vcc
	global_load_ushort v13, v[10:11], off
	s_mul_i32 s2, s6, s24
	s_ashr_i32 s0, s2, 31
	s_lshr_b32 s0, s0, 28
	s_add_i32 s0, s2, s0
	s_ashr_i32 s0, s0, 4
	v_add_u32_e32 v10, s0, v5
	v_ashrrev_i32_e32 v11, 31, v10
	v_lshlrev_b64 v[10:11], 2, v[10:11]
	v_add_co_u32_e32 v10, vcc, s20, v10
	v_addc_co_u32_e32 v11, vcc, v8, v11, vcc
	global_load_dword v24, v[10:11], off
	s_waitcnt vmcnt(10)
	v_bfe_u32 v9, v9, v4, 2
	v_sub_u32_e32 v9, v23, v9
	v_bfe_u32 v11, v3, 2, 2
	v_cvt_f32_i32_e32 v10, v9
	s_waitcnt vmcnt(9)
	v_bfe_u32 v9, v18, v4, 2
	v_sub_u32_e32 v11, v11, v7
	v_sub_u32_e32 v9, v11, v9
	v_cvt_f32_i32_e32 v11, v9
	v_cvt_f16_f32_e32 v18, v10
	s_lshl_b64 s[0:1], s[24:25], 1
	v_mov_b32_e32 v9, s1
	v_cvt_f16_f32_e32 v23, v11
	v_add_co_u32_e32 v10, vcc, s0, v0
	v_mul_f16_e32 v16, v16, v18
	v_addc_co_u32_e32 v11, vcc, v1, v9, vcc
	global_store_short v[0:1], v16, off
	v_mul_f16_e32 v0, v17, v23
	global_store_short v[10:11], v0, off
	v_bfe_u32 v0, v3, 4, 2
	v_sub_u32_e32 v0, v0, v7
	s_waitcnt vmcnt(9)
	v_bfe_u32 v1, v20, v4, 2
	v_sub_u32_e32 v0, v0, v1
	v_bfe_u32 v1, v3, 6, 2
	v_cvt_f32_i32_e32 v16, v0
	s_waitcnt vmcnt(7)
	v_bfe_u32 v0, v15, v4, 2
	v_sub_u32_e32 v1, v1, v7
	v_sub_u32_e32 v0, v1, v0
	v_cvt_f32_i32_e32 v15, v0
	v_cvt_f16_f32_e32 v16, v16
	v_add_co_u32_e32 v0, vcc, s0, v10
	v_cvt_f16_f32_e32 v15, v15
	v_addc_co_u32_e32 v1, vcc, v11, v9, vcc
	v_add_co_u32_e32 v10, vcc, s0, v0
	v_mul_f16_e32 v16, v19, v16
	v_addc_co_u32_e32 v11, vcc, v1, v9, vcc
	global_store_short v[0:1], v16, off
	v_mul_f16_e32 v0, v14, v15
	global_store_short v[10:11], v0, off
	v_bfe_u32 v0, v3, 8, 2
	v_sub_u32_e32 v0, v0, v7
	s_waitcnt vmcnt(8)
	v_bfe_u32 v1, v21, v4, 2
	v_bfe_u32 v14, v3, 10, 2
	v_sub_u32_e32 v0, v0, v1
	s_waitcnt vmcnt(7)
	v_bfe_u32 v1, v22, v4, 2
	v_sub_u32_e32 v14, v14, v7
	v_cvt_f32_i32_e32 v0, v0
	v_sub_u32_e32 v1, v14, v1
	v_cvt_f32_i32_e32 v1, v1
	v_add_co_u32_e32 v10, vcc, s0, v10
	v_cvt_f16_f32_e32 v14, v0
	v_cvt_f16_f32_e32 v15, v1
	v_addc_co_u32_e32 v11, vcc, v11, v9, vcc
	v_add_co_u32_e32 v0, vcc, s0, v10
	v_addc_co_u32_e32 v1, vcc, v11, v9, vcc
	s_waitcnt vmcnt(6)
	v_mul_f16_e32 v12, v12, v14
	global_store_short v[10:11], v12, off
	s_waitcnt vmcnt(6)
	v_mul_f16_e32 v10, v13, v15
	v_add_u32_e32 v12, s2, v2
	global_store_short v[0:1], v10, off
	v_bfe_u32 v10, v3, 12, 2
	s_mul_i32 s1, s7, s24
	v_ashrrev_i32_e32 v13, 31, v12
	v_sub_u32_e32 v14, v10, v7
	v_add_u32_e32 v10, s1, v2
	v_lshlrev_b64 v[12:13], 1, v[12:13]
	v_add_co_u32_e32 v12, vcc, s18, v12
	v_ashrrev_i32_e32 v11, 31, v10
	s_ashr_i32 s2, s1, 31
	v_addc_co_u32_e32 v13, vcc, v6, v13, vcc
	v_lshlrev_b64 v[10:11], 1, v[10:11]
	s_lshr_b32 s2, s2, 28
	v_add_co_u32_e32 v10, vcc, s18, v10
	s_add_i32 s1, s1, s2
	v_addc_co_u32_e32 v11, vcc, v6, v11, vcc
	s_ashr_i32 s1, s1, 4
	global_load_ushort v15, v[12:13], off
	global_load_ushort v17, v[10:11], off
	v_add_u32_e32 v10, s1, v5
	v_ashrrev_i32_e32 v11, 31, v10
	s_mul_i32 s1, s8, s24
	v_lshlrev_b64 v[10:11], 2, v[10:11]
	v_add_u32_e32 v12, s1, v2
	v_add_co_u32_e32 v10, vcc, s20, v10
	v_ashrrev_i32_e32 v13, 31, v12
	s_ashr_i32 s3, s1, 31
	v_addc_co_u32_e32 v11, vcc, v8, v11, vcc
	v_lshlrev_b64 v[12:13], 1, v[12:13]
	s_lshr_b32 s3, s3, 28
	v_add_co_u32_e32 v12, vcc, s18, v12
	s_add_i32 s1, s1, s3
	v_addc_co_u32_e32 v13, vcc, v6, v13, vcc
	s_ashr_i32 s1, s1, 4
	global_load_dword v18, v[10:11], off
	global_load_ushort v19, v[12:13], off
	v_add_u32_e32 v12, s1, v5
	s_mul_i32 s2, s9, s24
	v_ashrrev_i32_e32 v13, 31, v12
	v_add_u32_e32 v10, s2, v2
	v_lshlrev_b64 v[12:13], 2, v[12:13]
	v_add_co_u32_e32 v12, vcc, s20, v12
	v_ashrrev_i32_e32 v11, 31, v10
	s_ashr_i32 s1, s2, 31
	v_addc_co_u32_e32 v13, vcc, v8, v13, vcc
	v_lshlrev_b64 v[10:11], 1, v[10:11]
	s_lshr_b32 s1, s1, 28
	v_add_co_u32_e32 v10, vcc, s18, v10
	s_add_i32 s2, s2, s1
	v_addc_co_u32_e32 v11, vcc, v6, v11, vcc
	s_ashr_i32 s1, s2, 4
	global_load_ushort v21, v[10:11], off
	v_add_u32_e32 v10, s1, v5
	v_ashrrev_i32_e32 v11, 31, v10
	v_lshlrev_b64 v[10:11], 2, v[10:11]
	v_add_co_u32_e32 v10, vcc, s20, v10
	v_addc_co_u32_e32 v11, vcc, v8, v11, vcc
	s_mul_i32 s1, s10, s24
	global_load_dword v20, v[12:13], off
	global_load_dword v22, v[10:11], off
	v_add_u32_e32 v12, s1, v2
	v_ashrrev_i32_e32 v13, 31, v12
	s_ashr_i32 s3, s1, 31
	v_lshlrev_b64 v[12:13], 1, v[12:13]
	s_lshr_b32 s3, s3, 28
	v_add_co_u32_e32 v12, vcc, s18, v12
	s_add_i32 s1, s1, s3
	v_addc_co_u32_e32 v13, vcc, v6, v13, vcc
	s_ashr_i32 s1, s1, 4
	s_mul_i32 s2, s11, s24
	global_load_ushort v23, v[12:13], off
	v_add_u32_e32 v12, s1, v5
	v_ashrrev_i32_e32 v13, 31, v12
	s_ashr_i32 s1, s2, 31
	v_lshlrev_b64 v[12:13], 2, v[12:13]
	s_lshr_b32 s1, s1, 28
	v_add_u32_e32 v10, s2, v2
	v_add_co_u32_e32 v12, vcc, s20, v12
	s_add_i32 s2, s2, s1
	v_addc_co_u32_e32 v13, vcc, v8, v13, vcc
	s_ashr_i32 s1, s2, 4
	s_waitcnt vmcnt(14)
	v_bfe_u32 v16, v24, v4, 2
	global_load_dword v24, v[12:13], off
	v_add_u32_e32 v12, s1, v5
	s_mul_i32 s1, s12, s24
	v_ashrrev_i32_e32 v13, 31, v12
	s_ashr_i32 s2, s1, 31
	v_lshlrev_b64 v[12:13], 2, v[12:13]
	s_lshr_b32 s2, s2, 28
	v_add_co_u32_e32 v12, vcc, s20, v12
	s_add_i32 s2, s1, s2
	v_addc_co_u32_e32 v13, vcc, v8, v13, vcc
	s_ashr_i32 s2, s2, 4
	global_load_dword v25, v[12:13], off
	v_add_u32_e32 v12, s2, v5
	v_ashrrev_i32_e32 v13, 31, v12
	v_lshlrev_b64 v[12:13], 2, v[12:13]
	v_add_co_u32_e32 v12, vcc, s20, v12
	v_addc_co_u32_e32 v13, vcc, v8, v13, vcc
	global_load_dword v12, v[12:13], off
	v_ashrrev_i32_e32 v11, 31, v10
	v_lshlrev_b64 v[10:11], 1, v[10:11]
	v_add_co_u32_e32 v10, vcc, s18, v10
	v_addc_co_u32_e32 v11, vcc, v6, v11, vcc
	global_load_ushort v13, v[10:11], off
	v_add_u32_e32 v10, s1, v2
	v_ashrrev_i32_e32 v11, 31, v10
	v_lshlrev_b64 v[10:11], 1, v[10:11]
	v_add_co_u32_e32 v10, vcc, s18, v10
	v_addc_co_u32_e32 v11, vcc, v6, v11, vcc
	global_load_ushort v26, v[10:11], off
	v_sub_u32_e32 v10, v14, v16
	v_bfe_u32 v14, v3, 14, 2
	s_waitcnt vmcnt(10)
	v_bfe_u32 v11, v18, v4, 2
	v_sub_u32_e32 v14, v14, v7
	v_cvt_f32_i32_e32 v10, v10
	v_sub_u32_e32 v11, v14, v11
	v_cvt_f32_i32_e32 v11, v11
	v_add_co_u32_e32 v0, vcc, s0, v0
	v_cvt_f16_f32_e32 v14, v10
	v_cvt_f16_f32_e32 v16, v11
	v_addc_co_u32_e32 v1, vcc, v1, v9, vcc
	v_add_co_u32_e32 v10, vcc, s0, v0
	v_mul_f16_e32 v14, v15, v14
	v_addc_co_u32_e32 v11, vcc, v1, v9, vcc
	global_store_short v[0:1], v14, off
	v_mul_f16_e32 v0, v17, v16
	global_store_short v[10:11], v0, off
	v_bfe_u32 v0, v3, 16, 2
	v_sub_u32_e32 v0, v0, v7
	s_waitcnt vmcnt(9)
	v_bfe_u32 v1, v20, v4, 2
	v_sub_u32_e32 v0, v0, v1
	v_bfe_u32 v1, v3, 18, 2
	v_cvt_f32_i32_e32 v14, v0
	s_waitcnt vmcnt(8)
	v_bfe_u32 v0, v22, v4, 2
	v_sub_u32_e32 v1, v1, v7
	v_sub_u32_e32 v0, v1, v0
	v_cvt_f32_i32_e32 v15, v0
	v_cvt_f16_f32_e32 v14, v14
	v_add_co_u32_e32 v0, vcc, s0, v10
	v_cvt_f16_f32_e32 v15, v15
	v_addc_co_u32_e32 v1, vcc, v11, v9, vcc
	v_add_co_u32_e32 v10, vcc, s0, v0
	v_mul_f16_e32 v14, v19, v14
	v_addc_co_u32_e32 v11, vcc, v1, v9, vcc
	global_store_short v[0:1], v14, off
	v_mul_f16_e32 v0, v21, v15
	global_store_short v[10:11], v0, off
	v_bfe_u32 v0, v3, 20, 2
	v_sub_u32_e32 v0, v0, v7
	s_waitcnt vmcnt(8)
	v_bfe_u32 v1, v24, v4, 2
	v_sub_u32_e32 v0, v0, v1
	v_cvt_f32_i32_e32 v14, v0
	v_add_co_u32_e32 v0, vcc, s0, v10
	v_addc_co_u32_e32 v1, vcc, v11, v9, vcc
	v_bfe_u32 v11, v3, 22, 2
	v_sub_u32_e32 v11, v11, v7
	s_waitcnt vmcnt(7)
	v_bfe_u32 v10, v25, v4, 2
	v_sub_u32_e32 v10, v11, v10
	v_bfe_u32 v16, v3, 24, 2
	v_cvt_f32_i32_e32 v15, v10
	v_sub_u32_e32 v16, v16, v7
	v_cvt_f16_f32_e32 v14, v14
	s_mul_i32 s1, s13, s24
	v_cvt_f16_f32_e32 v15, v15
	s_waitcnt vmcnt(6)
	v_bfe_u32 v12, v12, v4, 2
	v_sub_u32_e32 v12, v16, v12
	v_cvt_f32_i32_e32 v12, v12
	v_add_co_u32_e32 v10, vcc, s0, v0
	v_mul_f16_e32 v14, v23, v14
	v_cvt_f16_f32_e32 v12, v12
	s_ashr_i32 s2, s1, 31
	v_addc_co_u32_e32 v11, vcc, v1, v9, vcc
	global_store_short v[0:1], v14, off
	s_waitcnt vmcnt(6)
	v_mul_f16_e32 v0, v13, v15
	s_lshr_b32 s2, s2, 28
	global_store_short v[10:11], v0, off
	v_add_co_u32_e32 v0, vcc, s0, v10
	s_add_i32 s2, s1, s2
	v_addc_co_u32_e32 v1, vcc, v11, v9, vcc
	s_waitcnt vmcnt(6)
	v_mul_f16_e32 v10, v26, v12
	s_ashr_i32 s2, s2, 4
	global_store_short v[0:1], v10, off
	v_add_u32_e32 v10, s2, v5
	v_ashrrev_i32_e32 v11, 31, v10
	v_lshlrev_b64 v[10:11], 2, v[10:11]
	v_add_co_u32_e32 v10, vcc, s20, v10
	v_addc_co_u32_e32 v11, vcc, v8, v11, vcc
	global_load_dword v12, v[10:11], off
	v_add_u32_e32 v10, s1, v2
	v_ashrrev_i32_e32 v11, 31, v10
	v_lshlrev_b64 v[10:11], 1, v[10:11]
	v_add_co_u32_e32 v10, vcc, s18, v10
	v_addc_co_u32_e32 v11, vcc, v6, v11, vcc
	global_load_ushort v10, v[10:11], off
	s_mul_i32 s1, s14, s24
	s_ashr_i32 s2, s1, 31
	s_lshr_b32 s2, s2, 28
	v_add_co_u32_e32 v0, vcc, s0, v0
	s_add_i32 s2, s1, s2
	v_addc_co_u32_e32 v1, vcc, v1, v9, vcc
	s_ashr_i32 s2, s2, 4
	s_waitcnt vmcnt(1)
	v_bfe_u32 v11, v12, v4, 2
	v_bfe_u32 v12, v3, 26, 2
	v_sub_u32_e32 v12, v12, v7
	v_sub_u32_e32 v11, v12, v11
	v_cvt_f32_i32_e32 v11, v11
	v_cvt_f16_f32_e32 v11, v11
	s_waitcnt vmcnt(0)
	v_mul_f16_e32 v10, v10, v11
	global_store_short v[0:1], v10, off
	v_add_u32_e32 v10, s2, v5
	v_ashrrev_i32_e32 v11, 31, v10
	v_lshlrev_b64 v[10:11], 2, v[10:11]
	v_add_co_u32_e32 v10, vcc, s20, v10
	v_addc_co_u32_e32 v11, vcc, v8, v11, vcc
	global_load_dword v12, v[10:11], off
	v_add_u32_e32 v10, s1, v2
	v_ashrrev_i32_e32 v11, 31, v10
	v_lshlrev_b64 v[10:11], 1, v[10:11]
	v_add_co_u32_e32 v10, vcc, s18, v10
	v_addc_co_u32_e32 v11, vcc, v6, v11, vcc
	global_load_ushort v10, v[10:11], off
	s_mul_i32 s1, s15, s24
	s_ashr_i32 s2, s1, 31
	s_lshr_b32 s2, s2, 28
	v_add_co_u32_e32 v0, vcc, s0, v0
	s_add_i32 s2, s1, s2
	v_addc_co_u32_e32 v1, vcc, v1, v9, vcc
	s_ashr_i32 s2, s2, 4
	s_waitcnt vmcnt(1)
	v_bfe_u32 v11, v12, v4, 2
	v_bfe_u32 v12, v3, 28, 2
	v_sub_u32_e32 v12, v12, v7
	v_sub_u32_e32 v11, v12, v11
	v_cvt_f32_i32_e32 v11, v11
	v_lshrrev_b32_e32 v3, 30, v3
	v_sub_u32_e32 v3, v3, v7
	v_cvt_f16_f32_e32 v11, v11
	s_waitcnt vmcnt(0)
	v_mul_f16_e32 v10, v10, v11
	global_store_short v[0:1], v10, off
	v_add_u32_e32 v10, s2, v5
	v_ashrrev_i32_e32 v11, 31, v10
	v_lshlrev_b64 v[10:11], 2, v[10:11]
	v_add_co_u32_e32 v10, vcc, s20, v10
	v_addc_co_u32_e32 v11, vcc, v8, v11, vcc
	global_load_dword v5, v[10:11], off
	v_add_u32_e32 v10, s1, v2
	v_ashrrev_i32_e32 v11, 31, v10
	v_lshlrev_b64 v[10:11], 1, v[10:11]
	v_add_co_u32_e32 v10, vcc, s18, v10
	v_addc_co_u32_e32 v11, vcc, v6, v11, vcc
	global_load_ushort v2, v[10:11], off
	v_add_co_u32_e32 v0, vcc, s0, v0
	v_addc_co_u32_e32 v1, vcc, v1, v9, vcc
	s_waitcnt vmcnt(1)
	v_bfe_u32 v4, v5, v4, 2
	v_sub_u32_e32 v3, v3, v4
	v_cvt_f32_i32_e32 v3, v3
	v_cvt_f16_f32_e32 v3, v3
	s_waitcnt vmcnt(0)
	v_mul_f16_e32 v2, v2, v3
	global_store_short v[0:1], v2, off
.LBB48_2:
	s_endpgm
	.section	.rodata,"a",@progbits
	.p2align	6, 0x0
	.amdhsa_kernel _ZN4vllm4gptq23reconstruct_gptq_kernelINS0_17MatrixView_q2_rowELi2EEEvPKjPK6__halfS4_PKiiiibPS5_
		.amdhsa_group_segment_fixed_size 0
		.amdhsa_private_segment_fixed_size 0
		.amdhsa_kernarg_size 56
		.amdhsa_user_sgpr_count 6
		.amdhsa_user_sgpr_private_segment_buffer 1
		.amdhsa_user_sgpr_dispatch_ptr 0
		.amdhsa_user_sgpr_queue_ptr 0
		.amdhsa_user_sgpr_kernarg_segment_ptr 1
		.amdhsa_user_sgpr_dispatch_id 0
		.amdhsa_user_sgpr_flat_scratch_init 0
		.amdhsa_user_sgpr_kernarg_preload_length 0
		.amdhsa_user_sgpr_kernarg_preload_offset 0
		.amdhsa_user_sgpr_private_segment_size 0
		.amdhsa_uses_dynamic_stack 0
		.amdhsa_system_sgpr_private_segment_wavefront_offset 0
		.amdhsa_system_sgpr_workgroup_id_x 1
		.amdhsa_system_sgpr_workgroup_id_y 1
		.amdhsa_system_sgpr_workgroup_id_z 0
		.amdhsa_system_sgpr_workgroup_info 0
		.amdhsa_system_vgpr_workitem_id 0
		.amdhsa_next_free_vgpr 27
		.amdhsa_next_free_sgpr 26
		.amdhsa_accum_offset 28
		.amdhsa_reserve_vcc 1
		.amdhsa_reserve_flat_scratch 0
		.amdhsa_float_round_mode_32 0
		.amdhsa_float_round_mode_16_64 0
		.amdhsa_float_denorm_mode_32 3
		.amdhsa_float_denorm_mode_16_64 3
		.amdhsa_dx10_clamp 1
		.amdhsa_ieee_mode 1
		.amdhsa_fp16_overflow 0
		.amdhsa_tg_split 0
		.amdhsa_exception_fp_ieee_invalid_op 0
		.amdhsa_exception_fp_denorm_src 0
		.amdhsa_exception_fp_ieee_div_zero 0
		.amdhsa_exception_fp_ieee_overflow 0
		.amdhsa_exception_fp_ieee_underflow 0
		.amdhsa_exception_fp_ieee_inexact 0
		.amdhsa_exception_int_div_zero 0
	.end_amdhsa_kernel
	.section	.text._ZN4vllm4gptq23reconstruct_gptq_kernelINS0_17MatrixView_q2_rowELi2EEEvPKjPK6__halfS4_PKiiiibPS5_,"axG",@progbits,_ZN4vllm4gptq23reconstruct_gptq_kernelINS0_17MatrixView_q2_rowELi2EEEvPKjPK6__halfS4_PKiiiibPS5_,comdat
.Lfunc_end48:
	.size	_ZN4vllm4gptq23reconstruct_gptq_kernelINS0_17MatrixView_q2_rowELi2EEEvPKjPK6__halfS4_PKiiiibPS5_, .Lfunc_end48-_ZN4vllm4gptq23reconstruct_gptq_kernelINS0_17MatrixView_q2_rowELi2EEEvPKjPK6__halfS4_PKiiiibPS5_
                                        ; -- End function
	.section	.AMDGPU.csdata,"",@progbits
; Kernel info:
; codeLenInByte = 2500
; NumSgprs: 30
; NumVgprs: 27
; NumAgprs: 0
; TotalNumVgprs: 27
; ScratchSize: 0
; MemoryBound: 0
; FloatMode: 240
; IeeeMode: 1
; LDSByteSize: 0 bytes/workgroup (compile time only)
; SGPRBlocks: 3
; VGPRBlocks: 3
; NumSGPRsForWavesPerEU: 30
; NumVGPRsForWavesPerEU: 27
; AccumOffset: 28
; Occupancy: 8
; WaveLimiterHint : 1
; COMPUTE_PGM_RSRC2:SCRATCH_EN: 0
; COMPUTE_PGM_RSRC2:USER_SGPR: 6
; COMPUTE_PGM_RSRC2:TRAP_HANDLER: 0
; COMPUTE_PGM_RSRC2:TGID_X_EN: 1
; COMPUTE_PGM_RSRC2:TGID_Y_EN: 1
; COMPUTE_PGM_RSRC2:TGID_Z_EN: 0
; COMPUTE_PGM_RSRC2:TIDIG_COMP_CNT: 0
; COMPUTE_PGM_RSRC3_GFX90A:ACCUM_OFFSET: 6
; COMPUTE_PGM_RSRC3_GFX90A:TG_SPLIT: 0
	.section	.text._ZN4vllm4gptq23reconstruct_gptq_kernelINS0_17MatrixView_q8_rowELi8EEEvPKjPK6__halfS4_PKiiiibPS5_,"axG",@progbits,_ZN4vllm4gptq23reconstruct_gptq_kernelINS0_17MatrixView_q8_rowELi8EEEvPKjPK6__halfS4_PKiiiibPS5_,comdat
	.protected	_ZN4vllm4gptq23reconstruct_gptq_kernelINS0_17MatrixView_q8_rowELi8EEEvPKjPK6__halfS4_PKiiiibPS5_ ; -- Begin function _ZN4vllm4gptq23reconstruct_gptq_kernelINS0_17MatrixView_q8_rowELi8EEEvPKjPK6__halfS4_PKiiiibPS5_
	.globl	_ZN4vllm4gptq23reconstruct_gptq_kernelINS0_17MatrixView_q8_rowELi8EEEvPKjPK6__halfS4_PKiiiibPS5_
	.p2align	8
	.type	_ZN4vllm4gptq23reconstruct_gptq_kernelINS0_17MatrixView_q8_rowELi8EEEvPKjPK6__halfS4_PKiiiibPS5_,@function
_ZN4vllm4gptq23reconstruct_gptq_kernelINS0_17MatrixView_q8_rowELi8EEEvPKjPK6__halfS4_PKiiiibPS5_: ; @_ZN4vllm4gptq23reconstruct_gptq_kernelINS0_17MatrixView_q8_rowELi8EEEvPKjPK6__halfS4_PKiiiibPS5_
; %bb.0:
	s_load_dword s16, s[4:5], 0x24
	v_lshl_add_u32 v1, s6, 7, v0
	s_waitcnt lgkmcnt(0)
	v_cmp_gt_u32_e32 vcc, s16, v1
	s_and_saveexec_b64 s[0:1], vcc
	s_cbranch_execz .LBB49_2
; %bb.1:
	s_load_dword s0, s[4:5], 0x2c
	s_load_dwordx8 s[8:15], s[4:5], 0x0
	s_mul_i32 s1, s7, s16
	v_add_u32_e32 v2, s1, v1
	v_mov_b32_e32 v3, 0
	s_waitcnt lgkmcnt(0)
	s_bitcmp1_b32 s0, 0
	s_cselect_b64 s[18:19], -1, 0
	s_lshl_b32 s0, s7, 2
	s_and_b32 s6, s0, 0x1ffffffc
	s_lshl_b32 s0, s6, 2
	s_load_dwordx4 s[0:3], s[14:15], s0 offset:0x0
	v_lshlrev_b64 v[2:3], 2, v[2:3]
	v_mov_b32_e32 v4, s9
	v_add_co_u32_e32 v2, vcc, s8, v2
	s_waitcnt lgkmcnt(0)
	s_mul_i32 s0, s0, s16
	v_addc_co_u32_e32 v3, vcc, v4, v3, vcc
	v_add_u32_e32 v4, s0, v1
	global_load_dword v6, v[2:3], off
	v_ashrrev_i32_e32 v2, 31, v1
	v_ashrrev_i32_e32 v5, 31, v4
	s_ashr_i32 s7, s0, 31
	v_lshrrev_b32_e32 v2, 30, v2
	v_lshlrev_b64 v[4:5], 1, v[4:5]
	s_lshr_b32 s7, s7, 30
	v_add_u32_e32 v2, v1, v2
	v_mov_b32_e32 v8, s11
	v_add_co_u32_e32 v4, vcc, s10, v4
	s_add_i32 s0, s0, s7
	v_ashrrev_i32_e32 v7, 2, v2
	v_addc_co_u32_e32 v5, vcc, v8, v5, vcc
	s_ashr_i32 s0, s0, 2
	global_load_ushort v9, v[4:5], off
	v_add_u32_e32 v4, s0, v7
	s_mul_i32 s1, s1, s16
	v_ashrrev_i32_e32 v5, 31, v4
	v_add_u32_e32 v2, s1, v1
	v_lshlrev_b64 v[4:5], 2, v[4:5]
	v_mov_b32_e32 v10, s13
	v_add_co_u32_e32 v4, vcc, s12, v4
	v_ashrrev_i32_e32 v3, 31, v2
	s_ashr_i32 s0, s1, 31
	v_addc_co_u32_e32 v5, vcc, v10, v5, vcc
	v_lshlrev_b64 v[2:3], 1, v[2:3]
	s_lshr_b32 s0, s0, 30
	v_add_co_u32_e32 v2, vcc, s10, v2
	s_add_i32 s1, s1, s0
	v_addc_co_u32_e32 v3, vcc, v8, v3, vcc
	s_ashr_i32 s0, s1, 2
	global_load_ushort v12, v[2:3], off
	v_add_u32_e32 v2, s0, v7
	v_ashrrev_i32_e32 v3, 31, v2
	v_lshlrev_b64 v[2:3], 2, v[2:3]
	s_mul_i32 s0, s2, s16
	v_add_co_u32_e32 v2, vcc, s12, v2
	s_ashr_i32 s2, s0, 31
	global_load_dword v11, v[4:5], off
	v_addc_co_u32_e32 v3, vcc, v10, v3, vcc
	global_load_dword v13, v[2:3], off
	s_lshr_b32 s2, s2, 30
	s_add_i32 s2, s0, s2
	s_ashr_i32 s2, s2, 2
	s_mul_i32 s1, s3, s16
	v_add_u32_e32 v2, s2, v7
	v_ashrrev_i32_e32 v3, 31, v2
	s_ashr_i32 s2, s1, 31
	v_lshlrev_b64 v[2:3], 2, v[2:3]
	s_lshr_b32 s2, s2, 30
	v_add_co_u32_e32 v2, vcc, s12, v2
	s_add_i32 s2, s1, s2
	v_addc_co_u32_e32 v3, vcc, v10, v3, vcc
	s_ashr_i32 s2, s2, 2
	global_load_dword v14, v[2:3], off
	v_add_u32_e32 v2, s2, v7
	v_ashrrev_i32_e32 v3, 31, v2
	v_lshlrev_b64 v[2:3], 2, v[2:3]
	v_add_co_u32_e32 v2, vcc, s12, v2
	v_addc_co_u32_e32 v3, vcc, v10, v3, vcc
	global_load_dword v7, v[2:3], off
	v_add_u32_e32 v4, s0, v1
	v_ashrrev_i32_e32 v5, 31, v4
	v_add_u32_e32 v2, s1, v1
	v_lshlrev_b64 v[4:5], 1, v[4:5]
	v_add_co_u32_e32 v4, vcc, s10, v4
	v_ashrrev_i32_e32 v3, 31, v2
	v_addc_co_u32_e32 v5, vcc, v8, v5, vcc
	v_lshlrev_b64 v[2:3], 1, v[2:3]
	v_add_co_u32_e32 v2, vcc, s10, v2
	global_load_ushort v4, v[4:5], off
	v_addc_co_u32_e32 v3, vcc, v8, v3, vcc
	global_load_ushort v5, v[2:3], off
	s_load_dwordx2 s[0:1], s[4:5], 0x30
	s_mul_i32 s6, s6, s16
	v_add_u32_e32 v2, s6, v1
	v_ashrrev_i32_e32 v3, 31, v2
	v_lshlrev_b64 v[2:3], 1, v[2:3]
	s_waitcnt lgkmcnt(0)
	v_mov_b32_e32 v1, s1
	v_add_co_u32_e32 v2, vcc, s0, v2
	v_lshlrev_b32_e32 v0, 3, v0
	s_xor_b64 s[0:1], s[18:19], -1
	v_and_b32_e32 v8, 24, v0
	v_cndmask_b32_e64 v10, 0, 1, s[0:1]
	v_addc_co_u32_e32 v3, vcc, v1, v3, vcc
	s_waitcnt vmcnt(8)
	v_sub_u32_sdwa v0, v6, v10 dst_sel:DWORD dst_unused:UNUSED_PAD src0_sel:BYTE_0 src1_sel:DWORD
	s_ashr_i32 s17, s16, 31
	s_lshl_b64 s[0:1], s[16:17], 1
	s_waitcnt vmcnt(5)
	v_bfe_u32 v1, v11, v8, 8
	v_sub_u32_e32 v0, v0, v1
	v_sub_u32_sdwa v11, v6, v10 dst_sel:DWORD dst_unused:UNUSED_PAD src0_sel:BYTE_1 src1_sel:DWORD
	s_waitcnt vmcnt(4)
	v_bfe_u32 v1, v13, v8, 8
	v_cvt_f32_i32_e32 v0, v0
	v_sub_u32_e32 v1, v11, v1
	v_cvt_f32_i32_e32 v1, v1
	v_mov_b32_e32 v11, s1
	v_cvt_f16_f32_e32 v13, v0
	v_add_co_u32_e32 v0, vcc, s0, v2
	v_cvt_f16_f32_e32 v15, v1
	v_mul_f16_e32 v9, v9, v13
	v_addc_co_u32_e32 v1, vcc, v3, v11, vcc
	global_store_short v[2:3], v9, off
	v_mul_f16_e32 v2, v12, v15
	global_store_short v[0:1], v2, off
	v_sub_u32_sdwa v2, v6, v10 dst_sel:DWORD dst_unused:UNUSED_PAD src0_sel:BYTE_2 src1_sel:DWORD
	s_waitcnt vmcnt(5)
	v_bfe_u32 v3, v14, v8, 8
	v_sub_u32_e32 v2, v2, v3
	v_sub_u32_sdwa v6, v6, v10 dst_sel:DWORD dst_unused:UNUSED_PAD src0_sel:BYTE_3 src1_sel:DWORD
	v_cvt_f32_i32_e32 v2, v2
	v_add_co_u32_e32 v0, vcc, s0, v0
	v_addc_co_u32_e32 v1, vcc, v1, v11, vcc
	s_waitcnt vmcnt(4)
	v_bfe_u32 v3, v7, v8, 8
	v_sub_u32_e32 v3, v6, v3
	v_cvt_f32_i32_e32 v3, v3
	v_cvt_f16_f32_e32 v6, v2
	v_add_co_u32_e32 v2, vcc, s0, v0
	v_cvt_f16_f32_e32 v7, v3
	v_addc_co_u32_e32 v3, vcc, v1, v11, vcc
	s_waitcnt vmcnt(3)
	v_mul_f16_e32 v4, v4, v6
	global_store_short v[0:1], v4, off
	s_waitcnt vmcnt(3)
	v_mul_f16_e32 v0, v5, v7
	global_store_short v[2:3], v0, off
.LBB49_2:
	s_endpgm
	.section	.rodata,"a",@progbits
	.p2align	6, 0x0
	.amdhsa_kernel _ZN4vllm4gptq23reconstruct_gptq_kernelINS0_17MatrixView_q8_rowELi8EEEvPKjPK6__halfS4_PKiiiibPS5_
		.amdhsa_group_segment_fixed_size 0
		.amdhsa_private_segment_fixed_size 0
		.amdhsa_kernarg_size 56
		.amdhsa_user_sgpr_count 6
		.amdhsa_user_sgpr_private_segment_buffer 1
		.amdhsa_user_sgpr_dispatch_ptr 0
		.amdhsa_user_sgpr_queue_ptr 0
		.amdhsa_user_sgpr_kernarg_segment_ptr 1
		.amdhsa_user_sgpr_dispatch_id 0
		.amdhsa_user_sgpr_flat_scratch_init 0
		.amdhsa_user_sgpr_kernarg_preload_length 0
		.amdhsa_user_sgpr_kernarg_preload_offset 0
		.amdhsa_user_sgpr_private_segment_size 0
		.amdhsa_uses_dynamic_stack 0
		.amdhsa_system_sgpr_private_segment_wavefront_offset 0
		.amdhsa_system_sgpr_workgroup_id_x 1
		.amdhsa_system_sgpr_workgroup_id_y 1
		.amdhsa_system_sgpr_workgroup_id_z 0
		.amdhsa_system_sgpr_workgroup_info 0
		.amdhsa_system_vgpr_workitem_id 0
		.amdhsa_next_free_vgpr 16
		.amdhsa_next_free_sgpr 20
		.amdhsa_accum_offset 16
		.amdhsa_reserve_vcc 1
		.amdhsa_reserve_flat_scratch 0
		.amdhsa_float_round_mode_32 0
		.amdhsa_float_round_mode_16_64 0
		.amdhsa_float_denorm_mode_32 3
		.amdhsa_float_denorm_mode_16_64 3
		.amdhsa_dx10_clamp 1
		.amdhsa_ieee_mode 1
		.amdhsa_fp16_overflow 0
		.amdhsa_tg_split 0
		.amdhsa_exception_fp_ieee_invalid_op 0
		.amdhsa_exception_fp_denorm_src 0
		.amdhsa_exception_fp_ieee_div_zero 0
		.amdhsa_exception_fp_ieee_overflow 0
		.amdhsa_exception_fp_ieee_underflow 0
		.amdhsa_exception_fp_ieee_inexact 0
		.amdhsa_exception_int_div_zero 0
	.end_amdhsa_kernel
	.section	.text._ZN4vllm4gptq23reconstruct_gptq_kernelINS0_17MatrixView_q8_rowELi8EEEvPKjPK6__halfS4_PKiiiibPS5_,"axG",@progbits,_ZN4vllm4gptq23reconstruct_gptq_kernelINS0_17MatrixView_q8_rowELi8EEEvPKjPK6__halfS4_PKiiiibPS5_,comdat
.Lfunc_end49:
	.size	_ZN4vllm4gptq23reconstruct_gptq_kernelINS0_17MatrixView_q8_rowELi8EEEvPKjPK6__halfS4_PKiiiibPS5_, .Lfunc_end49-_ZN4vllm4gptq23reconstruct_gptq_kernelINS0_17MatrixView_q8_rowELi8EEEvPKjPK6__halfS4_PKiiiibPS5_
                                        ; -- End function
	.section	.AMDGPU.csdata,"",@progbits
; Kernel info:
; codeLenInByte = 780
; NumSgprs: 24
; NumVgprs: 16
; NumAgprs: 0
; TotalNumVgprs: 16
; ScratchSize: 0
; MemoryBound: 0
; FloatMode: 240
; IeeeMode: 1
; LDSByteSize: 0 bytes/workgroup (compile time only)
; SGPRBlocks: 2
; VGPRBlocks: 1
; NumSGPRsForWavesPerEU: 24
; NumVGPRsForWavesPerEU: 16
; AccumOffset: 16
; Occupancy: 8
; WaveLimiterHint : 0
; COMPUTE_PGM_RSRC2:SCRATCH_EN: 0
; COMPUTE_PGM_RSRC2:USER_SGPR: 6
; COMPUTE_PGM_RSRC2:TRAP_HANDLER: 0
; COMPUTE_PGM_RSRC2:TGID_X_EN: 1
; COMPUTE_PGM_RSRC2:TGID_Y_EN: 1
; COMPUTE_PGM_RSRC2:TGID_Z_EN: 0
; COMPUTE_PGM_RSRC2:TIDIG_COMP_CNT: 0
; COMPUTE_PGM_RSRC3_GFX90A:ACCUM_OFFSET: 3
; COMPUTE_PGM_RSRC3_GFX90A:TG_SPLIT: 0
	.text
	.p2alignl 6, 3212836864
	.fill 256, 4, 3212836864
	.type	__hip_cuid_11e193bf420b9e23,@object ; @__hip_cuid_11e193bf420b9e23
	.section	.bss,"aw",@nobits
	.globl	__hip_cuid_11e193bf420b9e23
__hip_cuid_11e193bf420b9e23:
	.byte	0                               ; 0x0
	.size	__hip_cuid_11e193bf420b9e23, 1

	.ident	"AMD clang version 19.0.0git (https://github.com/RadeonOpenCompute/llvm-project roc-6.4.0 25133 c7fe45cf4b819c5991fe208aaa96edf142730f1d)"
	.section	".note.GNU-stack","",@progbits
	.addrsig
	.addrsig_sym __hip_cuid_11e193bf420b9e23
	.amdgpu_metadata
---
amdhsa.kernels:
  - .agpr_count:     0
    .args:
      - .actual_access:  read_only
        .address_space:  global
        .offset:         0
        .size:           8
        .value_kind:     global_buffer
      - .actual_access:  read_only
        .address_space:  global
        .offset:         8
        .size:           8
        .value_kind:     global_buffer
      - .actual_access:  read_only
        .address_space:  global
        .offset:         16
        .size:           8
        .value_kind:     global_buffer
      - .actual_access:  read_only
        .address_space:  global
        .offset:         24
        .size:           8
        .value_kind:     global_buffer
      - .offset:         32
        .size:           4
        .value_kind:     by_value
      - .offset:         36
        .size:           4
        .value_kind:     by_value
      - .offset:         40
        .size:           4
        .value_kind:     by_value
      - .offset:         44
        .size:           1
        .value_kind:     by_value
      - .actual_access:  write_only
        .address_space:  global
        .offset:         48
        .size:           8
        .value_kind:     global_buffer
    .group_segment_fixed_size: 512
    .kernarg_segment_align: 8
    .kernarg_segment_size: 56
    .language:       OpenCL C
    .language_version:
      - 2
      - 0
    .max_flat_workgroup_size: 1024
    .name:           _ZN4vllm4gptq31reconstruct_exllama_8bit_kernelEPKjPKiS2_PK6__halfiiibPS5_
    .private_segment_fixed_size: 0
    .sgpr_count:     45
    .sgpr_spill_count: 0
    .symbol:         _ZN4vllm4gptq31reconstruct_exllama_8bit_kernelEPKjPKiS2_PK6__halfiiibPS5_.kd
    .uniform_work_group_size: 1
    .uses_dynamic_stack: false
    .vgpr_count:     55
    .vgpr_spill_count: 0
    .wavefront_size: 64
  - .agpr_count:     0
    .args:
      - .actual_access:  read_only
        .address_space:  global
        .offset:         0
        .size:           8
        .value_kind:     global_buffer
      - .actual_access:  read_only
        .address_space:  global
        .offset:         8
        .size:           8
        .value_kind:     global_buffer
      - .actual_access:  read_only
        .address_space:  global
        .offset:         16
        .size:           8
        .value_kind:     global_buffer
      - .actual_access:  read_only
        .address_space:  global
        .offset:         24
        .size:           8
        .value_kind:     global_buffer
      - .offset:         32
        .size:           4
        .value_kind:     by_value
      - .offset:         36
        .size:           4
        .value_kind:     by_value
      - .offset:         40
        .size:           4
        .value_kind:     by_value
      - .offset:         44
        .size:           1
        .value_kind:     by_value
      - .actual_access:  write_only
        .address_space:  global
        .offset:         48
        .size:           8
        .value_kind:     global_buffer
    .group_segment_fixed_size: 512
    .kernarg_segment_align: 8
    .kernarg_segment_size: 56
    .language:       OpenCL C
    .language_version:
      - 2
      - 0
    .max_flat_workgroup_size: 1024
    .name:           _ZN4vllm4gptq31reconstruct_exllama_4bit_kernelEPKjPKiS2_PK6__halfiiibPS5_
    .private_segment_fixed_size: 0
    .sgpr_count:     46
    .sgpr_spill_count: 0
    .symbol:         _ZN4vllm4gptq31reconstruct_exllama_4bit_kernelEPKjPKiS2_PK6__halfiiibPS5_.kd
    .uniform_work_group_size: 1
    .uses_dynamic_stack: false
    .vgpr_count:     52
    .vgpr_spill_count: 0
    .wavefront_size: 64
  - .agpr_count:     0
    .args:
      - .actual_access:  read_only
        .address_space:  global
        .offset:         0
        .size:           8
        .value_kind:     global_buffer
      - .actual_access:  read_only
        .address_space:  global
        .offset:         8
        .size:           8
        .value_kind:     global_buffer
      - .actual_access:  read_only
        .address_space:  global
        .offset:         16
        .size:           8
        .value_kind:     global_buffer
      - .actual_access:  read_only
        .address_space:  global
        .offset:         24
        .size:           8
        .value_kind:     global_buffer
      - .offset:         32
        .size:           4
        .value_kind:     by_value
      - .offset:         36
        .size:           4
        .value_kind:     by_value
      - .offset:         40
        .size:           4
        .value_kind:     by_value
      - .offset:         44
        .size:           1
        .value_kind:     by_value
      - .actual_access:  write_only
        .address_space:  global
        .offset:         48
        .size:           8
        .value_kind:     global_buffer
    .group_segment_fixed_size: 512
    .kernarg_segment_align: 8
    .kernarg_segment_size: 56
    .language:       OpenCL C
    .language_version:
      - 2
      - 0
    .max_flat_workgroup_size: 1024
    .name:           _ZN4vllm4gptq31reconstruct_exllama_3bit_kernelEPKjPKiS2_PK6__halfiiibPS5_
    .private_segment_fixed_size: 0
    .sgpr_count:     80
    .sgpr_spill_count: 0
    .symbol:         _ZN4vllm4gptq31reconstruct_exllama_3bit_kernelEPKjPKiS2_PK6__halfiiibPS5_.kd
    .uniform_work_group_size: 1
    .uses_dynamic_stack: false
    .vgpr_count:     108
    .vgpr_spill_count: 0
    .wavefront_size: 64
  - .agpr_count:     0
    .args:
      - .actual_access:  read_only
        .address_space:  global
        .offset:         0
        .size:           8
        .value_kind:     global_buffer
      - .actual_access:  read_only
        .address_space:  global
        .offset:         8
        .size:           8
        .value_kind:     global_buffer
      - .actual_access:  read_only
        .address_space:  global
        .offset:         16
        .size:           8
        .value_kind:     global_buffer
      - .actual_access:  read_only
        .address_space:  global
        .offset:         24
        .size:           8
        .value_kind:     global_buffer
      - .offset:         32
        .size:           4
        .value_kind:     by_value
      - .offset:         36
        .size:           4
        .value_kind:     by_value
      - .offset:         40
        .size:           4
        .value_kind:     by_value
      - .offset:         44
        .size:           1
        .value_kind:     by_value
      - .actual_access:  write_only
        .address_space:  global
        .offset:         48
        .size:           8
        .value_kind:     global_buffer
    .group_segment_fixed_size: 512
    .kernarg_segment_align: 8
    .kernarg_segment_size: 56
    .language:       OpenCL C
    .language_version:
      - 2
      - 0
    .max_flat_workgroup_size: 1024
    .name:           _ZN4vllm4gptq31reconstruct_exllama_2bit_kernelEPKjPKiS2_PK6__halfiiibPS5_
    .private_segment_fixed_size: 0
    .sgpr_count:     63
    .sgpr_spill_count: 0
    .symbol:         _ZN4vllm4gptq31reconstruct_exllama_2bit_kernelEPKjPKiS2_PK6__halfiiibPS5_.kd
    .uniform_work_group_size: 1
    .uses_dynamic_stack: false
    .vgpr_count:     83
    .vgpr_spill_count: 0
    .wavefront_size: 64
  - .agpr_count:     0
    .args:
      - .actual_access:  read_only
        .address_space:  global
        .offset:         0
        .size:           8
        .value_kind:     global_buffer
      - .actual_access:  read_only
        .address_space:  global
        .offset:         8
        .size:           8
        .value_kind:     global_buffer
      - .address_space:  global
        .offset:         16
        .size:           8
        .value_kind:     global_buffer
      - .actual_access:  read_only
        .address_space:  global
        .offset:         24
        .size:           8
        .value_kind:     global_buffer
      - .actual_access:  read_only
        .address_space:  global
        .offset:         32
        .size:           8
        .value_kind:     global_buffer
      - .actual_access:  read_only
        .address_space:  global
        .offset:         40
        .size:           8
        .value_kind:     global_buffer
      - .offset:         48
        .size:           4
        .value_kind:     by_value
      - .offset:         52
        .size:           4
        .value_kind:     by_value
      - .offset:         56
        .size:           4
        .value_kind:     by_value
      - .offset:         60
        .size:           1
        .value_kind:     by_value
    .group_segment_fixed_size: 26624
    .kernarg_segment_align: 8
    .kernarg_segment_size: 64
    .language:       OpenCL C
    .language_version:
      - 2
      - 0
    .max_flat_workgroup_size: 1024
    .name:           _ZN4vllm4gptq32gemm_half_q_half_alt_4bit_kernelEPK7__half2PKjP6__halfPKS6_S5_PKiiiib
    .private_segment_fixed_size: 0
    .sgpr_count:     48
    .sgpr_spill_count: 0
    .symbol:         _ZN4vllm4gptq32gemm_half_q_half_alt_4bit_kernelEPK7__half2PKjP6__halfPKS6_S5_PKiiiib.kd
    .uniform_work_group_size: 1
    .uses_dynamic_stack: false
    .vgpr_count:     27
    .vgpr_spill_count: 0
    .wavefront_size: 64
  - .agpr_count:     0
    .args:
      - .actual_access:  read_only
        .address_space:  global
        .offset:         0
        .size:           8
        .value_kind:     global_buffer
      - .actual_access:  read_only
        .address_space:  global
        .offset:         8
        .size:           8
        .value_kind:     global_buffer
      - .address_space:  global
        .offset:         16
        .size:           8
        .value_kind:     global_buffer
      - .actual_access:  read_only
        .address_space:  global
        .offset:         24
        .size:           8
        .value_kind:     global_buffer
      - .actual_access:  read_only
        .address_space:  global
        .offset:         32
        .size:           8
        .value_kind:     global_buffer
      - .actual_access:  read_only
        .address_space:  global
        .offset:         40
        .size:           8
        .value_kind:     global_buffer
      - .offset:         48
        .size:           4
        .value_kind:     by_value
      - .offset:         52
        .size:           4
        .value_kind:     by_value
      - .offset:         56
        .size:           4
        .value_kind:     by_value
      - .offset:         60
        .size:           1
        .value_kind:     by_value
    .group_segment_fixed_size: 18432
    .kernarg_segment_align: 8
    .kernarg_segment_size: 64
    .language:       OpenCL C
    .language_version:
      - 2
      - 0
    .max_flat_workgroup_size: 1024
    .name:           _ZN4vllm4gptq32gemm_half_q_half_alt_8bit_kernelEPK7__half2PKjP6__halfPKS6_S5_PKiiiib
    .private_segment_fixed_size: 0
    .sgpr_count:     42
    .sgpr_spill_count: 0
    .symbol:         _ZN4vllm4gptq32gemm_half_q_half_alt_8bit_kernelEPK7__half2PKjP6__halfPKS6_S5_PKiiiib.kd
    .uniform_work_group_size: 1
    .uses_dynamic_stack: false
    .vgpr_count:     25
    .vgpr_spill_count: 0
    .wavefront_size: 64
  - .agpr_count:     0
    .args:
      - .actual_access:  read_only
        .address_space:  global
        .offset:         0
        .size:           8
        .value_kind:     global_buffer
      - .actual_access:  read_only
        .address_space:  global
        .offset:         8
        .size:           8
        .value_kind:     global_buffer
      - .actual_access:  read_only
        .address_space:  global
        .offset:         16
        .size:           8
        .value_kind:     global_buffer
      - .actual_access:  read_only
        .address_space:  global
        .offset:         24
        .size:           8
        .value_kind:     global_buffer
      - .offset:         32
        .size:           4
        .value_kind:     by_value
      - .offset:         36
        .size:           4
        .value_kind:     by_value
      - .offset:         40
        .size:           4
        .value_kind:     by_value
      - .offset:         44
        .size:           1
        .value_kind:     by_value
      - .actual_access:  write_only
        .address_space:  global
        .offset:         48
        .size:           8
        .value_kind:     global_buffer
    .group_segment_fixed_size: 0
    .kernarg_segment_align: 8
    .kernarg_segment_size: 56
    .language:       OpenCL C
    .language_version:
      - 2
      - 0
    .max_flat_workgroup_size: 1024
    .name:           _ZN4vllm4gptq28reconstruct_gptq_3bit_kernelEPKjPK6__halfS2_PKiiiibPS3_
    .private_segment_fixed_size: 0
    .sgpr_count:     31
    .sgpr_spill_count: 0
    .symbol:         _ZN4vllm4gptq28reconstruct_gptq_3bit_kernelEPKjPK6__halfS2_PKiiiibPS3_.kd
    .uniform_work_group_size: 1
    .uses_dynamic_stack: false
    .vgpr_count:     16
    .vgpr_spill_count: 0
    .wavefront_size: 64
  - .agpr_count:     0
    .args:
      - .address_space:  global
        .offset:         0
        .size:           8
        .value_kind:     global_buffer
      - .offset:         8
        .size:           4
        .value_kind:     by_value
      - .offset:         12
        .size:           4
        .value_kind:     by_value
    .group_segment_fixed_size: 0
    .kernarg_segment_align: 8
    .kernarg_segment_size: 16
    .language:       OpenCL C
    .language_version:
      - 2
      - 0
    .max_flat_workgroup_size: 1024
    .name:           _ZN4vllm4gptq19shuffle_4bit_kernelEPjii
    .private_segment_fixed_size: 0
    .sgpr_count:     14
    .sgpr_spill_count: 0
    .symbol:         _ZN4vllm4gptq19shuffle_4bit_kernelEPjii.kd
    .uniform_work_group_size: 1
    .uses_dynamic_stack: false
    .vgpr_count:     10
    .vgpr_spill_count: 0
    .wavefront_size: 64
  - .agpr_count:     0
    .args:
      - .actual_access:  read_only
        .address_space:  global
        .offset:         0
        .size:           8
        .value_kind:     global_buffer
      - .offset:         8
        .size:           4
        .value_kind:     by_value
      - .offset:         12
        .size:           4
        .value_kind:     by_value
    .group_segment_fixed_size: 0
    .kernarg_segment_align: 8
    .kernarg_segment_size: 16
    .language:       OpenCL C
    .language_version:
      - 2
      - 0
    .max_flat_workgroup_size: 1024
    .name:           _ZN4vllm4gptq19shuffle_8bit_kernelEPjii
    .private_segment_fixed_size: 0
    .sgpr_count:     4
    .sgpr_spill_count: 0
    .symbol:         _ZN4vllm4gptq19shuffle_8bit_kernelEPjii.kd
    .uniform_work_group_size: 1
    .uses_dynamic_stack: false
    .vgpr_count:     0
    .vgpr_spill_count: 0
    .wavefront_size: 64
  - .agpr_count:     0
    .args:
      - .address_space:  global
        .offset:         0
        .size:           8
        .value_kind:     global_buffer
      - .offset:         8
        .size:           4
        .value_kind:     by_value
      - .offset:         12
        .size:           4
        .value_kind:     by_value
    .group_segment_fixed_size: 0
    .kernarg_segment_align: 8
    .kernarg_segment_size: 16
    .language:       OpenCL C
    .language_version:
      - 2
      - 0
    .max_flat_workgroup_size: 1024
    .name:           _ZN4vllm4gptq19shuffle_2bit_kernelEPjii
    .private_segment_fixed_size: 0
    .sgpr_count:     14
    .sgpr_spill_count: 0
    .symbol:         _ZN4vllm4gptq19shuffle_2bit_kernelEPjii.kd
    .uniform_work_group_size: 1
    .uses_dynamic_stack: false
    .vgpr_count:     18
    .vgpr_spill_count: 0
    .wavefront_size: 64
  - .agpr_count:     0
    .args:
      - .address_space:  global
        .offset:         0
        .size:           8
        .value_kind:     global_buffer
      - .offset:         8
        .size:           4
        .value_kind:     by_value
      - .offset:         12
        .size:           4
        .value_kind:     by_value
    .group_segment_fixed_size: 0
    .kernarg_segment_align: 8
    .kernarg_segment_size: 16
    .language:       OpenCL C
    .language_version:
      - 2
      - 0
    .max_flat_workgroup_size: 1024
    .name:           _ZN4vllm4gptq19shuffle_3bit_kernelEPjii
    .private_segment_fixed_size: 0
    .sgpr_count:     14
    .sgpr_spill_count: 0
    .symbol:         _ZN4vllm4gptq19shuffle_3bit_kernelEPjii.kd
    .uniform_work_group_size: 1
    .uses_dynamic_stack: false
    .vgpr_count:     42
    .vgpr_spill_count: 0
    .wavefront_size: 64
  - .agpr_count:     0
    .args:
      - .actual_access:  read_only
        .address_space:  global
        .offset:         0
        .size:           8
        .value_kind:     global_buffer
      - .actual_access:  write_only
        .address_space:  global
        .offset:         8
        .size:           8
        .value_kind:     global_buffer
      - .actual_access:  read_only
        .address_space:  global
        .offset:         16
        .size:           8
        .value_kind:     global_buffer
      - .offset:         24
        .size:           4
        .value_kind:     by_value
    .group_segment_fixed_size: 0
    .kernarg_segment_align: 8
    .kernarg_segment_size: 28
    .language:       OpenCL C
    .language_version:
      - 2
      - 0
    .max_flat_workgroup_size: 1024
    .name:           _ZN4vllm4gptq27make_sequential_4bit_kernelEPKjPjPKii
    .private_segment_fixed_size: 0
    .sgpr_count:     24
    .sgpr_spill_count: 0
    .symbol:         _ZN4vllm4gptq27make_sequential_4bit_kernelEPKjPjPKii.kd
    .uniform_work_group_size: 1
    .uses_dynamic_stack: false
    .vgpr_count:     20
    .vgpr_spill_count: 0
    .wavefront_size: 64
  - .agpr_count:     0
    .args:
      - .actual_access:  read_only
        .address_space:  global
        .offset:         0
        .size:           8
        .value_kind:     global_buffer
      - .actual_access:  write_only
        .address_space:  global
        .offset:         8
        .size:           8
        .value_kind:     global_buffer
      - .actual_access:  read_only
        .address_space:  global
        .offset:         16
        .size:           8
        .value_kind:     global_buffer
      - .offset:         24
        .size:           4
        .value_kind:     by_value
    .group_segment_fixed_size: 0
    .kernarg_segment_align: 8
    .kernarg_segment_size: 28
    .language:       OpenCL C
    .language_version:
      - 2
      - 0
    .max_flat_workgroup_size: 1024
    .name:           _ZN4vllm4gptq27make_sequential_2bit_kernelEPKjPjPKii
    .private_segment_fixed_size: 0
    .sgpr_count:     32
    .sgpr_spill_count: 0
    .symbol:         _ZN4vllm4gptq27make_sequential_2bit_kernelEPKjPjPKii.kd
    .uniform_work_group_size: 1
    .uses_dynamic_stack: false
    .vgpr_count:     32
    .vgpr_spill_count: 0
    .wavefront_size: 64
  - .agpr_count:     0
    .args:
      - .actual_access:  read_only
        .address_space:  global
        .offset:         0
        .size:           8
        .value_kind:     global_buffer
      - .actual_access:  write_only
        .address_space:  global
        .offset:         8
        .size:           8
        .value_kind:     global_buffer
      - .actual_access:  read_only
        .address_space:  global
        .offset:         16
        .size:           8
        .value_kind:     global_buffer
      - .offset:         24
        .size:           4
        .value_kind:     by_value
    .group_segment_fixed_size: 0
    .kernarg_segment_align: 8
    .kernarg_segment_size: 28
    .language:       OpenCL C
    .language_version:
      - 2
      - 0
    .max_flat_workgroup_size: 1024
    .name:           _ZN4vllm4gptq27make_sequential_3bit_kernelEPKjPjPKii
    .private_segment_fixed_size: 0
    .sgpr_count:     21
    .sgpr_spill_count: 0
    .symbol:         _ZN4vllm4gptq27make_sequential_3bit_kernelEPKjPjPKii.kd
    .uniform_work_group_size: 1
    .uses_dynamic_stack: false
    .vgpr_count:     66
    .vgpr_spill_count: 0
    .wavefront_size: 64
  - .agpr_count:     0
    .args:
      - .actual_access:  read_only
        .address_space:  global
        .offset:         0
        .size:           8
        .value_kind:     global_buffer
      - .actual_access:  write_only
        .address_space:  global
        .offset:         8
        .size:           8
        .value_kind:     global_buffer
      - .actual_access:  read_only
        .address_space:  global
        .offset:         16
        .size:           8
        .value_kind:     global_buffer
      - .offset:         24
        .size:           4
        .value_kind:     by_value
    .group_segment_fixed_size: 0
    .kernarg_segment_align: 8
    .kernarg_segment_size: 28
    .language:       OpenCL C
    .language_version:
      - 2
      - 0
    .max_flat_workgroup_size: 1024
    .name:           _ZN4vllm4gptq27make_sequential_8bit_kernelEPKjPjPKii
    .private_segment_fixed_size: 0
    .sgpr_count:     20
    .sgpr_spill_count: 0
    .symbol:         _ZN4vllm4gptq27make_sequential_8bit_kernelEPKjPjPKii.kd
    .uniform_work_group_size: 1
    .uses_dynamic_stack: false
    .vgpr_count:     17
    .vgpr_spill_count: 0
    .wavefront_size: 64
  - .agpr_count:     0
    .args:
      - .actual_access:  read_only
        .address_space:  global
        .offset:         0
        .size:           8
        .value_kind:     global_buffer
      - .actual_access:  read_only
        .address_space:  global
        .offset:         8
        .size:           8
        .value_kind:     global_buffer
      - .actual_access:  read_only
        .address_space:  global
        .offset:         16
        .size:           8
        .value_kind:     global_buffer
      - .actual_access:  read_only
        .address_space:  global
        .offset:         24
        .size:           8
        .value_kind:     global_buffer
      - .address_space:  global
        .offset:         32
        .size:           8
        .value_kind:     global_buffer
      - .offset:         40
        .size:           4
        .value_kind:     by_value
      - .offset:         44
        .size:           4
        .value_kind:     by_value
      - .offset:         48
        .size:           4
        .value_kind:     by_value
      - .offset:         52
        .size:           4
        .value_kind:     by_value
      - .offset:         56
        .size:           1
        .value_kind:     by_value
      - .actual_access:  read_only
        .address_space:  global
        .offset:         64
        .size:           8
        .value_kind:     global_buffer
    .group_segment_fixed_size: 256
    .kernarg_segment_align: 8
    .kernarg_segment_size: 72
    .language:       OpenCL C
    .language_version:
      - 2
      - 0
    .max_flat_workgroup_size: 1024
    .name:           _ZN4vllm4gptq33gemm_half_q_half_gptq_2bit_kernelILb1ELi1EEEvPK6__halfPKjS6_S4_PS2_iiiibPKi
    .private_segment_fixed_size: 0
    .sgpr_count:     28
    .sgpr_spill_count: 0
    .symbol:         _ZN4vllm4gptq33gemm_half_q_half_gptq_2bit_kernelILb1ELi1EEEvPK6__halfPKjS6_S4_PS2_iiiibPKi.kd
    .uniform_work_group_size: 1
    .uses_dynamic_stack: false
    .vgpr_count:     56
    .vgpr_spill_count: 0
    .wavefront_size: 64
  - .agpr_count:     0
    .args:
      - .actual_access:  read_only
        .address_space:  global
        .offset:         0
        .size:           8
        .value_kind:     global_buffer
      - .actual_access:  read_only
        .address_space:  global
        .offset:         8
        .size:           8
        .value_kind:     global_buffer
      - .actual_access:  read_only
        .address_space:  global
        .offset:         16
        .size:           8
        .value_kind:     global_buffer
      - .actual_access:  read_only
        .address_space:  global
        .offset:         24
        .size:           8
        .value_kind:     global_buffer
      - .address_space:  global
        .offset:         32
        .size:           8
        .value_kind:     global_buffer
      - .offset:         40
        .size:           4
        .value_kind:     by_value
      - .offset:         44
        .size:           4
        .value_kind:     by_value
      - .offset:         48
        .size:           4
        .value_kind:     by_value
      - .offset:         52
        .size:           4
        .value_kind:     by_value
      - .offset:         56
        .size:           1
        .value_kind:     by_value
      - .actual_access:  read_only
        .address_space:  global
        .offset:         64
        .size:           8
        .value_kind:     global_buffer
    .group_segment_fixed_size: 256
    .kernarg_segment_align: 8
    .kernarg_segment_size: 72
    .language:       OpenCL C
    .language_version:
      - 2
      - 0
    .max_flat_workgroup_size: 1024
    .name:           _ZN4vllm4gptq33gemm_half_q_half_gptq_3bit_kernelILb1ELi1EEEvPK6__halfPKjS6_S4_PS2_iiiibPKi
    .private_segment_fixed_size: 0
    .sgpr_count:     44
    .sgpr_spill_count: 0
    .symbol:         _ZN4vllm4gptq33gemm_half_q_half_gptq_3bit_kernelILb1ELi1EEEvPK6__halfPKjS6_S4_PS2_iiiibPKi.kd
    .uniform_work_group_size: 1
    .uses_dynamic_stack: false
    .vgpr_count:     92
    .vgpr_spill_count: 0
    .wavefront_size: 64
  - .agpr_count:     0
    .args:
      - .actual_access:  read_only
        .address_space:  global
        .offset:         0
        .size:           8
        .value_kind:     global_buffer
      - .actual_access:  read_only
        .address_space:  global
        .offset:         8
        .size:           8
        .value_kind:     global_buffer
      - .actual_access:  read_only
        .address_space:  global
        .offset:         16
        .size:           8
        .value_kind:     global_buffer
      - .actual_access:  read_only
        .address_space:  global
        .offset:         24
        .size:           8
        .value_kind:     global_buffer
      - .address_space:  global
        .offset:         32
        .size:           8
        .value_kind:     global_buffer
      - .offset:         40
        .size:           4
        .value_kind:     by_value
      - .offset:         44
        .size:           4
        .value_kind:     by_value
      - .offset:         48
        .size:           4
        .value_kind:     by_value
      - .offset:         52
        .size:           4
        .value_kind:     by_value
      - .offset:         56
        .size:           1
        .value_kind:     by_value
      - .actual_access:  read_only
        .address_space:  global
        .offset:         64
        .size:           8
        .value_kind:     global_buffer
    .group_segment_fixed_size: 256
    .kernarg_segment_align: 8
    .kernarg_segment_size: 72
    .language:       OpenCL C
    .language_version:
      - 2
      - 0
    .max_flat_workgroup_size: 1024
    .name:           _ZN4vllm4gptq33gemm_half_q_half_gptq_4bit_kernelILb1ELi1EEEvPK6__halfPKjS6_S4_PS2_iiiibPKi
    .private_segment_fixed_size: 0
    .sgpr_count:     28
    .sgpr_spill_count: 0
    .symbol:         _ZN4vllm4gptq33gemm_half_q_half_gptq_4bit_kernelILb1ELi1EEEvPK6__halfPKjS6_S4_PS2_iiiibPKi.kd
    .uniform_work_group_size: 1
    .uses_dynamic_stack: false
    .vgpr_count:     60
    .vgpr_spill_count: 0
    .wavefront_size: 64
  - .agpr_count:     0
    .args:
      - .actual_access:  read_only
        .address_space:  global
        .offset:         0
        .size:           8
        .value_kind:     global_buffer
      - .actual_access:  read_only
        .address_space:  global
        .offset:         8
        .size:           8
        .value_kind:     global_buffer
      - .actual_access:  read_only
        .address_space:  global
        .offset:         16
        .size:           8
        .value_kind:     global_buffer
      - .actual_access:  read_only
        .address_space:  global
        .offset:         24
        .size:           8
        .value_kind:     global_buffer
      - .address_space:  global
        .offset:         32
        .size:           8
        .value_kind:     global_buffer
      - .offset:         40
        .size:           4
        .value_kind:     by_value
      - .offset:         44
        .size:           4
        .value_kind:     by_value
      - .offset:         48
        .size:           4
        .value_kind:     by_value
      - .offset:         52
        .size:           4
        .value_kind:     by_value
      - .offset:         56
        .size:           1
        .value_kind:     by_value
      - .actual_access:  read_only
        .address_space:  global
        .offset:         64
        .size:           8
        .value_kind:     global_buffer
    .group_segment_fixed_size: 256
    .kernarg_segment_align: 8
    .kernarg_segment_size: 72
    .language:       OpenCL C
    .language_version:
      - 2
      - 0
    .max_flat_workgroup_size: 1024
    .name:           _ZN4vllm4gptq33gemm_half_q_half_gptq_8bit_kernelILb1ELi1EEEvPK6__halfPKjS6_S4_PS2_iiiibPKi
    .private_segment_fixed_size: 0
    .sgpr_count:     30
    .sgpr_spill_count: 0
    .symbol:         _ZN4vllm4gptq33gemm_half_q_half_gptq_8bit_kernelILb1ELi1EEEvPK6__halfPKjS6_S4_PS2_iiiibPKi.kd
    .uniform_work_group_size: 1
    .uses_dynamic_stack: false
    .vgpr_count:     77
    .vgpr_spill_count: 0
    .wavefront_size: 64
  - .agpr_count:     0
    .args:
      - .actual_access:  read_only
        .address_space:  global
        .offset:         0
        .size:           8
        .value_kind:     global_buffer
      - .actual_access:  read_only
        .address_space:  global
        .offset:         8
        .size:           8
        .value_kind:     global_buffer
      - .actual_access:  read_only
        .address_space:  global
        .offset:         16
        .size:           8
        .value_kind:     global_buffer
      - .actual_access:  read_only
        .address_space:  global
        .offset:         24
        .size:           8
        .value_kind:     global_buffer
      - .address_space:  global
        .offset:         32
        .size:           8
        .value_kind:     global_buffer
      - .offset:         40
        .size:           4
        .value_kind:     by_value
      - .offset:         44
        .size:           4
        .value_kind:     by_value
      - .offset:         48
        .size:           4
        .value_kind:     by_value
      - .offset:         52
        .size:           4
        .value_kind:     by_value
      - .offset:         56
        .size:           1
        .value_kind:     by_value
      - .actual_access:  read_only
        .address_space:  global
        .offset:         64
        .size:           8
        .value_kind:     global_buffer
    .group_segment_fixed_size: 512
    .kernarg_segment_align: 8
    .kernarg_segment_size: 72
    .language:       OpenCL C
    .language_version:
      - 2
      - 0
    .max_flat_workgroup_size: 1024
    .name:           _ZN4vllm4gptq33gemm_half_q_half_gptq_2bit_kernelILb1ELi2EEEvPK6__halfPKjS6_S4_PS2_iiiibPKi
    .private_segment_fixed_size: 0
    .sgpr_count:     30
    .sgpr_spill_count: 0
    .symbol:         _ZN4vllm4gptq33gemm_half_q_half_gptq_2bit_kernelILb1ELi2EEEvPK6__halfPKjS6_S4_PS2_iiiibPKi.kd
    .uniform_work_group_size: 1
    .uses_dynamic_stack: false
    .vgpr_count:     62
    .vgpr_spill_count: 0
    .wavefront_size: 64
  - .agpr_count:     0
    .args:
      - .actual_access:  read_only
        .address_space:  global
        .offset:         0
        .size:           8
        .value_kind:     global_buffer
      - .actual_access:  read_only
        .address_space:  global
        .offset:         8
        .size:           8
        .value_kind:     global_buffer
      - .actual_access:  read_only
        .address_space:  global
        .offset:         16
        .size:           8
        .value_kind:     global_buffer
      - .actual_access:  read_only
        .address_space:  global
        .offset:         24
        .size:           8
        .value_kind:     global_buffer
      - .address_space:  global
        .offset:         32
        .size:           8
        .value_kind:     global_buffer
      - .offset:         40
        .size:           4
        .value_kind:     by_value
      - .offset:         44
        .size:           4
        .value_kind:     by_value
      - .offset:         48
        .size:           4
        .value_kind:     by_value
      - .offset:         52
        .size:           4
        .value_kind:     by_value
      - .offset:         56
        .size:           1
        .value_kind:     by_value
      - .actual_access:  read_only
        .address_space:  global
        .offset:         64
        .size:           8
        .value_kind:     global_buffer
    .group_segment_fixed_size: 512
    .kernarg_segment_align: 8
    .kernarg_segment_size: 72
    .language:       OpenCL C
    .language_version:
      - 2
      - 0
    .max_flat_workgroup_size: 1024
    .name:           _ZN4vllm4gptq33gemm_half_q_half_gptq_3bit_kernelILb1ELi2EEEvPK6__halfPKjS6_S4_PS2_iiiibPKi
    .private_segment_fixed_size: 0
    .sgpr_count:     44
    .sgpr_spill_count: 0
    .symbol:         _ZN4vllm4gptq33gemm_half_q_half_gptq_3bit_kernelILb1ELi2EEEvPK6__halfPKjS6_S4_PS2_iiiibPKi.kd
    .uniform_work_group_size: 1
    .uses_dynamic_stack: false
    .vgpr_count:     107
    .vgpr_spill_count: 0
    .wavefront_size: 64
  - .agpr_count:     0
    .args:
      - .actual_access:  read_only
        .address_space:  global
        .offset:         0
        .size:           8
        .value_kind:     global_buffer
      - .actual_access:  read_only
        .address_space:  global
        .offset:         8
        .size:           8
        .value_kind:     global_buffer
      - .actual_access:  read_only
        .address_space:  global
        .offset:         16
        .size:           8
        .value_kind:     global_buffer
      - .actual_access:  read_only
        .address_space:  global
        .offset:         24
        .size:           8
        .value_kind:     global_buffer
      - .address_space:  global
        .offset:         32
        .size:           8
        .value_kind:     global_buffer
      - .offset:         40
        .size:           4
        .value_kind:     by_value
      - .offset:         44
        .size:           4
        .value_kind:     by_value
      - .offset:         48
        .size:           4
        .value_kind:     by_value
      - .offset:         52
        .size:           4
        .value_kind:     by_value
      - .offset:         56
        .size:           1
        .value_kind:     by_value
      - .actual_access:  read_only
        .address_space:  global
        .offset:         64
        .size:           8
        .value_kind:     global_buffer
    .group_segment_fixed_size: 512
    .kernarg_segment_align: 8
    .kernarg_segment_size: 72
    .language:       OpenCL C
    .language_version:
      - 2
      - 0
    .max_flat_workgroup_size: 1024
    .name:           _ZN4vllm4gptq33gemm_half_q_half_gptq_4bit_kernelILb1ELi2EEEvPK6__halfPKjS6_S4_PS2_iiiibPKi
    .private_segment_fixed_size: 0
    .sgpr_count:     30
    .sgpr_spill_count: 0
    .symbol:         _ZN4vllm4gptq33gemm_half_q_half_gptq_4bit_kernelILb1ELi2EEEvPK6__halfPKjS6_S4_PS2_iiiibPKi.kd
    .uniform_work_group_size: 1
    .uses_dynamic_stack: false
    .vgpr_count:     77
    .vgpr_spill_count: 0
    .wavefront_size: 64
  - .agpr_count:     0
    .args:
      - .actual_access:  read_only
        .address_space:  global
        .offset:         0
        .size:           8
        .value_kind:     global_buffer
      - .actual_access:  read_only
        .address_space:  global
        .offset:         8
        .size:           8
        .value_kind:     global_buffer
      - .actual_access:  read_only
        .address_space:  global
        .offset:         16
        .size:           8
        .value_kind:     global_buffer
      - .actual_access:  read_only
        .address_space:  global
        .offset:         24
        .size:           8
        .value_kind:     global_buffer
      - .address_space:  global
        .offset:         32
        .size:           8
        .value_kind:     global_buffer
      - .offset:         40
        .size:           4
        .value_kind:     by_value
      - .offset:         44
        .size:           4
        .value_kind:     by_value
      - .offset:         48
        .size:           4
        .value_kind:     by_value
      - .offset:         52
        .size:           4
        .value_kind:     by_value
      - .offset:         56
        .size:           1
        .value_kind:     by_value
      - .actual_access:  read_only
        .address_space:  global
        .offset:         64
        .size:           8
        .value_kind:     global_buffer
    .group_segment_fixed_size: 512
    .kernarg_segment_align: 8
    .kernarg_segment_size: 72
    .language:       OpenCL C
    .language_version:
      - 2
      - 0
    .max_flat_workgroup_size: 1024
    .name:           _ZN4vllm4gptq33gemm_half_q_half_gptq_8bit_kernelILb1ELi2EEEvPK6__halfPKjS6_S4_PS2_iiiibPKi
    .private_segment_fixed_size: 0
    .sgpr_count:     30
    .sgpr_spill_count: 0
    .symbol:         _ZN4vllm4gptq33gemm_half_q_half_gptq_8bit_kernelILb1ELi2EEEvPK6__halfPKjS6_S4_PS2_iiiibPKi.kd
    .uniform_work_group_size: 1
    .uses_dynamic_stack: false
    .vgpr_count:     102
    .vgpr_spill_count: 0
    .wavefront_size: 64
  - .agpr_count:     0
    .args:
      - .actual_access:  read_only
        .address_space:  global
        .offset:         0
        .size:           8
        .value_kind:     global_buffer
      - .actual_access:  read_only
        .address_space:  global
        .offset:         8
        .size:           8
        .value_kind:     global_buffer
      - .actual_access:  read_only
        .address_space:  global
        .offset:         16
        .size:           8
        .value_kind:     global_buffer
      - .actual_access:  read_only
        .address_space:  global
        .offset:         24
        .size:           8
        .value_kind:     global_buffer
      - .address_space:  global
        .offset:         32
        .size:           8
        .value_kind:     global_buffer
      - .offset:         40
        .size:           4
        .value_kind:     by_value
      - .offset:         44
        .size:           4
        .value_kind:     by_value
      - .offset:         48
        .size:           4
        .value_kind:     by_value
      - .offset:         52
        .size:           4
        .value_kind:     by_value
      - .offset:         56
        .size:           1
        .value_kind:     by_value
      - .actual_access:  read_only
        .address_space:  global
        .offset:         64
        .size:           8
        .value_kind:     global_buffer
    .group_segment_fixed_size: 768
    .kernarg_segment_align: 8
    .kernarg_segment_size: 72
    .language:       OpenCL C
    .language_version:
      - 2
      - 0
    .max_flat_workgroup_size: 1024
    .name:           _ZN4vllm4gptq33gemm_half_q_half_gptq_2bit_kernelILb1ELi3EEEvPK6__halfPKjS6_S4_PS2_iiiibPKi
    .private_segment_fixed_size: 0
    .sgpr_count:     30
    .sgpr_spill_count: 0
    .symbol:         _ZN4vllm4gptq33gemm_half_q_half_gptq_2bit_kernelILb1ELi3EEEvPK6__halfPKjS6_S4_PS2_iiiibPKi.kd
    .uniform_work_group_size: 1
    .uses_dynamic_stack: false
    .vgpr_count:     62
    .vgpr_spill_count: 0
    .wavefront_size: 64
  - .agpr_count:     0
    .args:
      - .actual_access:  read_only
        .address_space:  global
        .offset:         0
        .size:           8
        .value_kind:     global_buffer
      - .actual_access:  read_only
        .address_space:  global
        .offset:         8
        .size:           8
        .value_kind:     global_buffer
      - .actual_access:  read_only
        .address_space:  global
        .offset:         16
        .size:           8
        .value_kind:     global_buffer
      - .actual_access:  read_only
        .address_space:  global
        .offset:         24
        .size:           8
        .value_kind:     global_buffer
      - .address_space:  global
        .offset:         32
        .size:           8
        .value_kind:     global_buffer
      - .offset:         40
        .size:           4
        .value_kind:     by_value
      - .offset:         44
        .size:           4
        .value_kind:     by_value
      - .offset:         48
        .size:           4
        .value_kind:     by_value
      - .offset:         52
        .size:           4
        .value_kind:     by_value
      - .offset:         56
        .size:           1
        .value_kind:     by_value
      - .actual_access:  read_only
        .address_space:  global
        .offset:         64
        .size:           8
        .value_kind:     global_buffer
    .group_segment_fixed_size: 768
    .kernarg_segment_align: 8
    .kernarg_segment_size: 72
    .language:       OpenCL C
    .language_version:
      - 2
      - 0
    .max_flat_workgroup_size: 1024
    .name:           _ZN4vllm4gptq33gemm_half_q_half_gptq_3bit_kernelILb1ELi3EEEvPK6__halfPKjS6_S4_PS2_iiiibPKi
    .private_segment_fixed_size: 0
    .sgpr_count:     44
    .sgpr_spill_count: 0
    .symbol:         _ZN4vllm4gptq33gemm_half_q_half_gptq_3bit_kernelILb1ELi3EEEvPK6__halfPKjS6_S4_PS2_iiiibPKi.kd
    .uniform_work_group_size: 1
    .uses_dynamic_stack: false
    .vgpr_count:     111
    .vgpr_spill_count: 0
    .wavefront_size: 64
  - .agpr_count:     0
    .args:
      - .actual_access:  read_only
        .address_space:  global
        .offset:         0
        .size:           8
        .value_kind:     global_buffer
      - .actual_access:  read_only
        .address_space:  global
        .offset:         8
        .size:           8
        .value_kind:     global_buffer
      - .actual_access:  read_only
        .address_space:  global
        .offset:         16
        .size:           8
        .value_kind:     global_buffer
      - .actual_access:  read_only
        .address_space:  global
        .offset:         24
        .size:           8
        .value_kind:     global_buffer
      - .address_space:  global
        .offset:         32
        .size:           8
        .value_kind:     global_buffer
      - .offset:         40
        .size:           4
        .value_kind:     by_value
      - .offset:         44
        .size:           4
        .value_kind:     by_value
      - .offset:         48
        .size:           4
        .value_kind:     by_value
      - .offset:         52
        .size:           4
        .value_kind:     by_value
      - .offset:         56
        .size:           1
        .value_kind:     by_value
      - .actual_access:  read_only
        .address_space:  global
        .offset:         64
        .size:           8
        .value_kind:     global_buffer
    .group_segment_fixed_size: 768
    .kernarg_segment_align: 8
    .kernarg_segment_size: 72
    .language:       OpenCL C
    .language_version:
      - 2
      - 0
    .max_flat_workgroup_size: 1024
    .name:           _ZN4vllm4gptq33gemm_half_q_half_gptq_4bit_kernelILb1ELi3EEEvPK6__halfPKjS6_S4_PS2_iiiibPKi
    .private_segment_fixed_size: 0
    .sgpr_count:     30
    .sgpr_spill_count: 0
    .symbol:         _ZN4vllm4gptq33gemm_half_q_half_gptq_4bit_kernelILb1ELi3EEEvPK6__halfPKjS6_S4_PS2_iiiibPKi.kd
    .uniform_work_group_size: 1
    .uses_dynamic_stack: false
    .vgpr_count:     87
    .vgpr_spill_count: 0
    .wavefront_size: 64
  - .agpr_count:     0
    .args:
      - .actual_access:  read_only
        .address_space:  global
        .offset:         0
        .size:           8
        .value_kind:     global_buffer
      - .actual_access:  read_only
        .address_space:  global
        .offset:         8
        .size:           8
        .value_kind:     global_buffer
      - .actual_access:  read_only
        .address_space:  global
        .offset:         16
        .size:           8
        .value_kind:     global_buffer
      - .actual_access:  read_only
        .address_space:  global
        .offset:         24
        .size:           8
        .value_kind:     global_buffer
      - .address_space:  global
        .offset:         32
        .size:           8
        .value_kind:     global_buffer
      - .offset:         40
        .size:           4
        .value_kind:     by_value
      - .offset:         44
        .size:           4
        .value_kind:     by_value
      - .offset:         48
        .size:           4
        .value_kind:     by_value
      - .offset:         52
        .size:           4
        .value_kind:     by_value
      - .offset:         56
        .size:           1
        .value_kind:     by_value
      - .actual_access:  read_only
        .address_space:  global
        .offset:         64
        .size:           8
        .value_kind:     global_buffer
    .group_segment_fixed_size: 768
    .kernarg_segment_align: 8
    .kernarg_segment_size: 72
    .language:       OpenCL C
    .language_version:
      - 2
      - 0
    .max_flat_workgroup_size: 1024
    .name:           _ZN4vllm4gptq33gemm_half_q_half_gptq_8bit_kernelILb1ELi3EEEvPK6__halfPKjS6_S4_PS2_iiiibPKi
    .private_segment_fixed_size: 16
    .sgpr_count:     36
    .sgpr_spill_count: 0
    .symbol:         _ZN4vllm4gptq33gemm_half_q_half_gptq_8bit_kernelILb1ELi3EEEvPK6__halfPKjS6_S4_PS2_iiiibPKi.kd
    .uniform_work_group_size: 1
    .uses_dynamic_stack: false
    .vgpr_count:     128
    .vgpr_spill_count: 5
    .wavefront_size: 64
  - .agpr_count:     0
    .args:
      - .actual_access:  read_only
        .address_space:  global
        .offset:         0
        .size:           8
        .value_kind:     global_buffer
      - .actual_access:  read_only
        .address_space:  global
        .offset:         8
        .size:           8
        .value_kind:     global_buffer
      - .actual_access:  read_only
        .address_space:  global
        .offset:         16
        .size:           8
        .value_kind:     global_buffer
      - .actual_access:  read_only
        .address_space:  global
        .offset:         24
        .size:           8
        .value_kind:     global_buffer
      - .address_space:  global
        .offset:         32
        .size:           8
        .value_kind:     global_buffer
      - .offset:         40
        .size:           4
        .value_kind:     by_value
      - .offset:         44
        .size:           4
        .value_kind:     by_value
      - .offset:         48
        .size:           4
        .value_kind:     by_value
      - .offset:         52
        .size:           4
        .value_kind:     by_value
      - .offset:         56
        .size:           1
        .value_kind:     by_value
      - .actual_access:  read_only
        .address_space:  global
        .offset:         64
        .size:           8
        .value_kind:     global_buffer
    .group_segment_fixed_size: 1024
    .kernarg_segment_align: 8
    .kernarg_segment_size: 72
    .language:       OpenCL C
    .language_version:
      - 2
      - 0
    .max_flat_workgroup_size: 1024
    .name:           _ZN4vllm4gptq33gemm_half_q_half_gptq_2bit_kernelILb1ELi4EEEvPK6__halfPKjS6_S4_PS2_iiiibPKi
    .private_segment_fixed_size: 0
    .sgpr_count:     30
    .sgpr_spill_count: 0
    .symbol:         _ZN4vllm4gptq33gemm_half_q_half_gptq_2bit_kernelILb1ELi4EEEvPK6__halfPKjS6_S4_PS2_iiiibPKi.kd
    .uniform_work_group_size: 1
    .uses_dynamic_stack: false
    .vgpr_count:     64
    .vgpr_spill_count: 0
    .wavefront_size: 64
  - .agpr_count:     0
    .args:
      - .actual_access:  read_only
        .address_space:  global
        .offset:         0
        .size:           8
        .value_kind:     global_buffer
      - .actual_access:  read_only
        .address_space:  global
        .offset:         8
        .size:           8
        .value_kind:     global_buffer
      - .actual_access:  read_only
        .address_space:  global
        .offset:         16
        .size:           8
        .value_kind:     global_buffer
      - .actual_access:  read_only
        .address_space:  global
        .offset:         24
        .size:           8
        .value_kind:     global_buffer
      - .address_space:  global
        .offset:         32
        .size:           8
        .value_kind:     global_buffer
      - .offset:         40
        .size:           4
        .value_kind:     by_value
      - .offset:         44
        .size:           4
        .value_kind:     by_value
      - .offset:         48
        .size:           4
        .value_kind:     by_value
      - .offset:         52
        .size:           4
        .value_kind:     by_value
      - .offset:         56
        .size:           1
        .value_kind:     by_value
      - .actual_access:  read_only
        .address_space:  global
        .offset:         64
        .size:           8
        .value_kind:     global_buffer
    .group_segment_fixed_size: 1024
    .kernarg_segment_align: 8
    .kernarg_segment_size: 72
    .language:       OpenCL C
    .language_version:
      - 2
      - 0
    .max_flat_workgroup_size: 1024
    .name:           _ZN4vllm4gptq33gemm_half_q_half_gptq_3bit_kernelILb1ELi4EEEvPK6__halfPKjS6_S4_PS2_iiiibPKi
    .private_segment_fixed_size: 0
    .sgpr_count:     44
    .sgpr_spill_count: 0
    .symbol:         _ZN4vllm4gptq33gemm_half_q_half_gptq_3bit_kernelILb1ELi4EEEvPK6__halfPKjS6_S4_PS2_iiiibPKi.kd
    .uniform_work_group_size: 1
    .uses_dynamic_stack: false
    .vgpr_count:     114
    .vgpr_spill_count: 0
    .wavefront_size: 64
  - .agpr_count:     0
    .args:
      - .actual_access:  read_only
        .address_space:  global
        .offset:         0
        .size:           8
        .value_kind:     global_buffer
      - .actual_access:  read_only
        .address_space:  global
        .offset:         8
        .size:           8
        .value_kind:     global_buffer
      - .actual_access:  read_only
        .address_space:  global
        .offset:         16
        .size:           8
        .value_kind:     global_buffer
      - .actual_access:  read_only
        .address_space:  global
        .offset:         24
        .size:           8
        .value_kind:     global_buffer
      - .address_space:  global
        .offset:         32
        .size:           8
        .value_kind:     global_buffer
      - .offset:         40
        .size:           4
        .value_kind:     by_value
      - .offset:         44
        .size:           4
        .value_kind:     by_value
      - .offset:         48
        .size:           4
        .value_kind:     by_value
      - .offset:         52
        .size:           4
        .value_kind:     by_value
      - .offset:         56
        .size:           1
        .value_kind:     by_value
      - .actual_access:  read_only
        .address_space:  global
        .offset:         64
        .size:           8
        .value_kind:     global_buffer
    .group_segment_fixed_size: 1024
    .kernarg_segment_align: 8
    .kernarg_segment_size: 72
    .language:       OpenCL C
    .language_version:
      - 2
      - 0
    .max_flat_workgroup_size: 1024
    .name:           _ZN4vllm4gptq33gemm_half_q_half_gptq_4bit_kernelILb1ELi4EEEvPK6__halfPKjS6_S4_PS2_iiiibPKi
    .private_segment_fixed_size: 0
    .sgpr_count:     30
    .sgpr_spill_count: 0
    .symbol:         _ZN4vllm4gptq33gemm_half_q_half_gptq_4bit_kernelILb1ELi4EEEvPK6__halfPKjS6_S4_PS2_iiiibPKi.kd
    .uniform_work_group_size: 1
    .uses_dynamic_stack: false
    .vgpr_count:     121
    .vgpr_spill_count: 0
    .wavefront_size: 64
  - .agpr_count:     0
    .args:
      - .actual_access:  read_only
        .address_space:  global
        .offset:         0
        .size:           8
        .value_kind:     global_buffer
      - .actual_access:  read_only
        .address_space:  global
        .offset:         8
        .size:           8
        .value_kind:     global_buffer
      - .actual_access:  read_only
        .address_space:  global
        .offset:         16
        .size:           8
        .value_kind:     global_buffer
      - .actual_access:  read_only
        .address_space:  global
        .offset:         24
        .size:           8
        .value_kind:     global_buffer
      - .address_space:  global
        .offset:         32
        .size:           8
        .value_kind:     global_buffer
      - .offset:         40
        .size:           4
        .value_kind:     by_value
      - .offset:         44
        .size:           4
        .value_kind:     by_value
      - .offset:         48
        .size:           4
        .value_kind:     by_value
      - .offset:         52
        .size:           4
        .value_kind:     by_value
      - .offset:         56
        .size:           1
        .value_kind:     by_value
      - .actual_access:  read_only
        .address_space:  global
        .offset:         64
        .size:           8
        .value_kind:     global_buffer
    .group_segment_fixed_size: 1024
    .kernarg_segment_align: 8
    .kernarg_segment_size: 72
    .language:       OpenCL C
    .language_version:
      - 2
      - 0
    .max_flat_workgroup_size: 1024
    .name:           _ZN4vllm4gptq33gemm_half_q_half_gptq_8bit_kernelILb1ELi4EEEvPK6__halfPKjS6_S4_PS2_iiiibPKi
    .private_segment_fixed_size: 72
    .sgpr_count:     36
    .sgpr_spill_count: 0
    .symbol:         _ZN4vllm4gptq33gemm_half_q_half_gptq_8bit_kernelILb1ELi4EEEvPK6__halfPKjS6_S4_PS2_iiiibPKi.kd
    .uniform_work_group_size: 1
    .uses_dynamic_stack: false
    .vgpr_count:     128
    .vgpr_spill_count: 19
    .wavefront_size: 64
  - .agpr_count:     0
    .args:
      - .actual_access:  read_only
        .address_space:  global
        .offset:         0
        .size:           8
        .value_kind:     global_buffer
      - .actual_access:  read_only
        .address_space:  global
        .offset:         8
        .size:           8
        .value_kind:     global_buffer
      - .actual_access:  read_only
        .address_space:  global
        .offset:         16
        .size:           8
        .value_kind:     global_buffer
      - .actual_access:  read_only
        .address_space:  global
        .offset:         24
        .size:           8
        .value_kind:     global_buffer
      - .address_space:  global
        .offset:         32
        .size:           8
        .value_kind:     global_buffer
      - .offset:         40
        .size:           4
        .value_kind:     by_value
      - .offset:         44
        .size:           4
        .value_kind:     by_value
      - .offset:         48
        .size:           4
        .value_kind:     by_value
      - .offset:         52
        .size:           4
        .value_kind:     by_value
      - .offset:         56
        .size:           1
        .value_kind:     by_value
      - .actual_access:  read_only
        .address_space:  global
        .offset:         64
        .size:           8
        .value_kind:     global_buffer
    .group_segment_fixed_size: 1280
    .kernarg_segment_align: 8
    .kernarg_segment_size: 72
    .language:       OpenCL C
    .language_version:
      - 2
      - 0
    .max_flat_workgroup_size: 1024
    .name:           _ZN4vllm4gptq33gemm_half_q_half_gptq_2bit_kernelILb1ELi5EEEvPK6__halfPKjS6_S4_PS2_iiiibPKi
    .private_segment_fixed_size: 0
    .sgpr_count:     30
    .sgpr_spill_count: 0
    .symbol:         _ZN4vllm4gptq33gemm_half_q_half_gptq_2bit_kernelILb1ELi5EEEvPK6__halfPKjS6_S4_PS2_iiiibPKi.kd
    .uniform_work_group_size: 1
    .uses_dynamic_stack: false
    .vgpr_count:     66
    .vgpr_spill_count: 0
    .wavefront_size: 64
  - .agpr_count:     0
    .args:
      - .actual_access:  read_only
        .address_space:  global
        .offset:         0
        .size:           8
        .value_kind:     global_buffer
      - .actual_access:  read_only
        .address_space:  global
        .offset:         8
        .size:           8
        .value_kind:     global_buffer
      - .actual_access:  read_only
        .address_space:  global
        .offset:         16
        .size:           8
        .value_kind:     global_buffer
      - .actual_access:  read_only
        .address_space:  global
        .offset:         24
        .size:           8
        .value_kind:     global_buffer
      - .address_space:  global
        .offset:         32
        .size:           8
        .value_kind:     global_buffer
      - .offset:         40
        .size:           4
        .value_kind:     by_value
      - .offset:         44
        .size:           4
        .value_kind:     by_value
      - .offset:         48
        .size:           4
        .value_kind:     by_value
      - .offset:         52
        .size:           4
        .value_kind:     by_value
      - .offset:         56
        .size:           1
        .value_kind:     by_value
      - .actual_access:  read_only
        .address_space:  global
        .offset:         64
        .size:           8
        .value_kind:     global_buffer
    .group_segment_fixed_size: 1280
    .kernarg_segment_align: 8
    .kernarg_segment_size: 72
    .language:       OpenCL C
    .language_version:
      - 2
      - 0
    .max_flat_workgroup_size: 1024
    .name:           _ZN4vllm4gptq33gemm_half_q_half_gptq_3bit_kernelILb1ELi5EEEvPK6__halfPKjS6_S4_PS2_iiiibPKi
    .private_segment_fixed_size: 0
    .sgpr_count:     44
    .sgpr_spill_count: 0
    .symbol:         _ZN4vllm4gptq33gemm_half_q_half_gptq_3bit_kernelILb1ELi5EEEvPK6__halfPKjS6_S4_PS2_iiiibPKi.kd
    .uniform_work_group_size: 1
    .uses_dynamic_stack: false
    .vgpr_count:     116
    .vgpr_spill_count: 0
    .wavefront_size: 64
  - .agpr_count:     0
    .args:
      - .actual_access:  read_only
        .address_space:  global
        .offset:         0
        .size:           8
        .value_kind:     global_buffer
      - .actual_access:  read_only
        .address_space:  global
        .offset:         8
        .size:           8
        .value_kind:     global_buffer
      - .actual_access:  read_only
        .address_space:  global
        .offset:         16
        .size:           8
        .value_kind:     global_buffer
      - .actual_access:  read_only
        .address_space:  global
        .offset:         24
        .size:           8
        .value_kind:     global_buffer
      - .address_space:  global
        .offset:         32
        .size:           8
        .value_kind:     global_buffer
      - .offset:         40
        .size:           4
        .value_kind:     by_value
      - .offset:         44
        .size:           4
        .value_kind:     by_value
      - .offset:         48
        .size:           4
        .value_kind:     by_value
      - .offset:         52
        .size:           4
        .value_kind:     by_value
      - .offset:         56
        .size:           1
        .value_kind:     by_value
      - .actual_access:  read_only
        .address_space:  global
        .offset:         64
        .size:           8
        .value_kind:     global_buffer
    .group_segment_fixed_size: 1280
    .kernarg_segment_align: 8
    .kernarg_segment_size: 72
    .language:       OpenCL C
    .language_version:
      - 2
      - 0
    .max_flat_workgroup_size: 1024
    .name:           _ZN4vllm4gptq33gemm_half_q_half_gptq_4bit_kernelILb1ELi5EEEvPK6__halfPKjS6_S4_PS2_iiiibPKi
    .private_segment_fixed_size: 0
    .sgpr_count:     30
    .sgpr_spill_count: 0
    .symbol:         _ZN4vllm4gptq33gemm_half_q_half_gptq_4bit_kernelILb1ELi5EEEvPK6__halfPKjS6_S4_PS2_iiiibPKi.kd
    .uniform_work_group_size: 1
    .uses_dynamic_stack: false
    .vgpr_count:     126
    .vgpr_spill_count: 0
    .wavefront_size: 64
  - .agpr_count:     0
    .args:
      - .actual_access:  read_only
        .address_space:  global
        .offset:         0
        .size:           8
        .value_kind:     global_buffer
      - .actual_access:  read_only
        .address_space:  global
        .offset:         8
        .size:           8
        .value_kind:     global_buffer
      - .actual_access:  read_only
        .address_space:  global
        .offset:         16
        .size:           8
        .value_kind:     global_buffer
      - .actual_access:  read_only
        .address_space:  global
        .offset:         24
        .size:           8
        .value_kind:     global_buffer
      - .address_space:  global
        .offset:         32
        .size:           8
        .value_kind:     global_buffer
      - .offset:         40
        .size:           4
        .value_kind:     by_value
      - .offset:         44
        .size:           4
        .value_kind:     by_value
      - .offset:         48
        .size:           4
        .value_kind:     by_value
      - .offset:         52
        .size:           4
        .value_kind:     by_value
      - .offset:         56
        .size:           1
        .value_kind:     by_value
      - .actual_access:  read_only
        .address_space:  global
        .offset:         64
        .size:           8
        .value_kind:     global_buffer
    .group_segment_fixed_size: 1280
    .kernarg_segment_align: 8
    .kernarg_segment_size: 72
    .language:       OpenCL C
    .language_version:
      - 2
      - 0
    .max_flat_workgroup_size: 1024
    .name:           _ZN4vllm4gptq33gemm_half_q_half_gptq_8bit_kernelILb1ELi5EEEvPK6__halfPKjS6_S4_PS2_iiiibPKi
    .private_segment_fixed_size: 244
    .sgpr_count:     36
    .sgpr_spill_count: 0
    .symbol:         _ZN4vllm4gptq33gemm_half_q_half_gptq_8bit_kernelILb1ELi5EEEvPK6__halfPKjS6_S4_PS2_iiiibPKi.kd
    .uniform_work_group_size: 1
    .uses_dynamic_stack: false
    .vgpr_count:     128
    .vgpr_spill_count: 66
    .wavefront_size: 64
  - .agpr_count:     0
    .args:
      - .actual_access:  read_only
        .address_space:  global
        .offset:         0
        .size:           8
        .value_kind:     global_buffer
      - .actual_access:  read_only
        .address_space:  global
        .offset:         8
        .size:           8
        .value_kind:     global_buffer
      - .actual_access:  read_only
        .address_space:  global
        .offset:         16
        .size:           8
        .value_kind:     global_buffer
      - .actual_access:  read_only
        .address_space:  global
        .offset:         24
        .size:           8
        .value_kind:     global_buffer
      - .address_space:  global
        .offset:         32
        .size:           8
        .value_kind:     global_buffer
      - .offset:         40
        .size:           4
        .value_kind:     by_value
      - .offset:         44
        .size:           4
        .value_kind:     by_value
      - .offset:         48
        .size:           4
        .value_kind:     by_value
      - .offset:         52
        .size:           4
        .value_kind:     by_value
      - .offset:         56
        .size:           1
        .value_kind:     by_value
      - .actual_access:  read_only
        .address_space:  global
        .offset:         64
        .size:           8
        .value_kind:     global_buffer
    .group_segment_fixed_size: 1536
    .kernarg_segment_align: 8
    .kernarg_segment_size: 72
    .language:       OpenCL C
    .language_version:
      - 2
      - 0
    .max_flat_workgroup_size: 1024
    .name:           _ZN4vllm4gptq33gemm_half_q_half_gptq_2bit_kernelILb1ELi6EEEvPK6__halfPKjS6_S4_PS2_iiiibPKi
    .private_segment_fixed_size: 0
    .sgpr_count:     30
    .sgpr_spill_count: 0
    .symbol:         _ZN4vllm4gptq33gemm_half_q_half_gptq_2bit_kernelILb1ELi6EEEvPK6__halfPKjS6_S4_PS2_iiiibPKi.kd
    .uniform_work_group_size: 1
    .uses_dynamic_stack: false
    .vgpr_count:     68
    .vgpr_spill_count: 0
    .wavefront_size: 64
  - .agpr_count:     0
    .args:
      - .actual_access:  read_only
        .address_space:  global
        .offset:         0
        .size:           8
        .value_kind:     global_buffer
      - .actual_access:  read_only
        .address_space:  global
        .offset:         8
        .size:           8
        .value_kind:     global_buffer
      - .actual_access:  read_only
        .address_space:  global
        .offset:         16
        .size:           8
        .value_kind:     global_buffer
      - .actual_access:  read_only
        .address_space:  global
        .offset:         24
        .size:           8
        .value_kind:     global_buffer
      - .address_space:  global
        .offset:         32
        .size:           8
        .value_kind:     global_buffer
      - .offset:         40
        .size:           4
        .value_kind:     by_value
      - .offset:         44
        .size:           4
        .value_kind:     by_value
      - .offset:         48
        .size:           4
        .value_kind:     by_value
      - .offset:         52
        .size:           4
        .value_kind:     by_value
      - .offset:         56
        .size:           1
        .value_kind:     by_value
      - .actual_access:  read_only
        .address_space:  global
        .offset:         64
        .size:           8
        .value_kind:     global_buffer
    .group_segment_fixed_size: 1536
    .kernarg_segment_align: 8
    .kernarg_segment_size: 72
    .language:       OpenCL C
    .language_version:
      - 2
      - 0
    .max_flat_workgroup_size: 1024
    .name:           _ZN4vllm4gptq33gemm_half_q_half_gptq_3bit_kernelILb1ELi6EEEvPK6__halfPKjS6_S4_PS2_iiiibPKi
    .private_segment_fixed_size: 0
    .sgpr_count:     44
    .sgpr_spill_count: 0
    .symbol:         _ZN4vllm4gptq33gemm_half_q_half_gptq_3bit_kernelILb1ELi6EEEvPK6__halfPKjS6_S4_PS2_iiiibPKi.kd
    .uniform_work_group_size: 1
    .uses_dynamic_stack: false
    .vgpr_count:     118
    .vgpr_spill_count: 0
    .wavefront_size: 64
  - .agpr_count:     0
    .args:
      - .actual_access:  read_only
        .address_space:  global
        .offset:         0
        .size:           8
        .value_kind:     global_buffer
      - .actual_access:  read_only
        .address_space:  global
        .offset:         8
        .size:           8
        .value_kind:     global_buffer
      - .actual_access:  read_only
        .address_space:  global
        .offset:         16
        .size:           8
        .value_kind:     global_buffer
      - .actual_access:  read_only
        .address_space:  global
        .offset:         24
        .size:           8
        .value_kind:     global_buffer
      - .address_space:  global
        .offset:         32
        .size:           8
        .value_kind:     global_buffer
      - .offset:         40
        .size:           4
        .value_kind:     by_value
      - .offset:         44
        .size:           4
        .value_kind:     by_value
      - .offset:         48
        .size:           4
        .value_kind:     by_value
      - .offset:         52
        .size:           4
        .value_kind:     by_value
      - .offset:         56
        .size:           1
        .value_kind:     by_value
      - .actual_access:  read_only
        .address_space:  global
        .offset:         64
        .size:           8
        .value_kind:     global_buffer
    .group_segment_fixed_size: 1536
    .kernarg_segment_align: 8
    .kernarg_segment_size: 72
    .language:       OpenCL C
    .language_version:
      - 2
      - 0
    .max_flat_workgroup_size: 1024
    .name:           _ZN4vllm4gptq33gemm_half_q_half_gptq_4bit_kernelILb1ELi6EEEvPK6__halfPKjS6_S4_PS2_iiiibPKi
    .private_segment_fixed_size: 52
    .sgpr_count:     36
    .sgpr_spill_count: 0
    .symbol:         _ZN4vllm4gptq33gemm_half_q_half_gptq_4bit_kernelILb1ELi6EEEvPK6__halfPKjS6_S4_PS2_iiiibPKi.kd
    .uniform_work_group_size: 1
    .uses_dynamic_stack: false
    .vgpr_count:     128
    .vgpr_spill_count: 14
    .wavefront_size: 64
  - .agpr_count:     0
    .args:
      - .actual_access:  read_only
        .address_space:  global
        .offset:         0
        .size:           8
        .value_kind:     global_buffer
      - .actual_access:  read_only
        .address_space:  global
        .offset:         8
        .size:           8
        .value_kind:     global_buffer
      - .actual_access:  read_only
        .address_space:  global
        .offset:         16
        .size:           8
        .value_kind:     global_buffer
      - .actual_access:  read_only
        .address_space:  global
        .offset:         24
        .size:           8
        .value_kind:     global_buffer
      - .address_space:  global
        .offset:         32
        .size:           8
        .value_kind:     global_buffer
      - .offset:         40
        .size:           4
        .value_kind:     by_value
      - .offset:         44
        .size:           4
        .value_kind:     by_value
      - .offset:         48
        .size:           4
        .value_kind:     by_value
      - .offset:         52
        .size:           4
        .value_kind:     by_value
      - .offset:         56
        .size:           1
        .value_kind:     by_value
      - .actual_access:  read_only
        .address_space:  global
        .offset:         64
        .size:           8
        .value_kind:     global_buffer
    .group_segment_fixed_size: 1536
    .kernarg_segment_align: 8
    .kernarg_segment_size: 72
    .language:       OpenCL C
    .language_version:
      - 2
      - 0
    .max_flat_workgroup_size: 1024
    .name:           _ZN4vllm4gptq33gemm_half_q_half_gptq_8bit_kernelILb1ELi6EEEvPK6__halfPKjS6_S4_PS2_iiiibPKi
    .private_segment_fixed_size: 316
    .sgpr_count:     36
    .sgpr_spill_count: 0
    .symbol:         _ZN4vllm4gptq33gemm_half_q_half_gptq_8bit_kernelILb1ELi6EEEvPK6__halfPKjS6_S4_PS2_iiiibPKi.kd
    .uniform_work_group_size: 1
    .uses_dynamic_stack: false
    .vgpr_count:     128
    .vgpr_spill_count: 118
    .wavefront_size: 64
  - .agpr_count:     0
    .args:
      - .actual_access:  read_only
        .address_space:  global
        .offset:         0
        .size:           8
        .value_kind:     global_buffer
      - .actual_access:  read_only
        .address_space:  global
        .offset:         8
        .size:           8
        .value_kind:     global_buffer
      - .actual_access:  read_only
        .address_space:  global
        .offset:         16
        .size:           8
        .value_kind:     global_buffer
      - .actual_access:  read_only
        .address_space:  global
        .offset:         24
        .size:           8
        .value_kind:     global_buffer
      - .address_space:  global
        .offset:         32
        .size:           8
        .value_kind:     global_buffer
      - .offset:         40
        .size:           4
        .value_kind:     by_value
      - .offset:         44
        .size:           4
        .value_kind:     by_value
      - .offset:         48
        .size:           4
        .value_kind:     by_value
      - .offset:         52
        .size:           4
        .value_kind:     by_value
      - .offset:         56
        .size:           1
        .value_kind:     by_value
      - .actual_access:  read_only
        .address_space:  global
        .offset:         64
        .size:           8
        .value_kind:     global_buffer
    .group_segment_fixed_size: 1792
    .kernarg_segment_align: 8
    .kernarg_segment_size: 72
    .language:       OpenCL C
    .language_version:
      - 2
      - 0
    .max_flat_workgroup_size: 1024
    .name:           _ZN4vllm4gptq33gemm_half_q_half_gptq_2bit_kernelILb1ELi7EEEvPK6__halfPKjS6_S4_PS2_iiiibPKi
    .private_segment_fixed_size: 0
    .sgpr_count:     30
    .sgpr_spill_count: 0
    .symbol:         _ZN4vllm4gptq33gemm_half_q_half_gptq_2bit_kernelILb1ELi7EEEvPK6__halfPKjS6_S4_PS2_iiiibPKi.kd
    .uniform_work_group_size: 1
    .uses_dynamic_stack: false
    .vgpr_count:     70
    .vgpr_spill_count: 0
    .wavefront_size: 64
  - .agpr_count:     0
    .args:
      - .actual_access:  read_only
        .address_space:  global
        .offset:         0
        .size:           8
        .value_kind:     global_buffer
      - .actual_access:  read_only
        .address_space:  global
        .offset:         8
        .size:           8
        .value_kind:     global_buffer
      - .actual_access:  read_only
        .address_space:  global
        .offset:         16
        .size:           8
        .value_kind:     global_buffer
      - .actual_access:  read_only
        .address_space:  global
        .offset:         24
        .size:           8
        .value_kind:     global_buffer
      - .address_space:  global
        .offset:         32
        .size:           8
        .value_kind:     global_buffer
      - .offset:         40
        .size:           4
        .value_kind:     by_value
      - .offset:         44
        .size:           4
        .value_kind:     by_value
      - .offset:         48
        .size:           4
        .value_kind:     by_value
      - .offset:         52
        .size:           4
        .value_kind:     by_value
      - .offset:         56
        .size:           1
        .value_kind:     by_value
      - .actual_access:  read_only
        .address_space:  global
        .offset:         64
        .size:           8
        .value_kind:     global_buffer
    .group_segment_fixed_size: 1792
    .kernarg_segment_align: 8
    .kernarg_segment_size: 72
    .language:       OpenCL C
    .language_version:
      - 2
      - 0
    .max_flat_workgroup_size: 1024
    .name:           _ZN4vllm4gptq33gemm_half_q_half_gptq_3bit_kernelILb1ELi7EEEvPK6__halfPKjS6_S4_PS2_iiiibPKi
    .private_segment_fixed_size: 0
    .sgpr_count:     44
    .sgpr_spill_count: 0
    .symbol:         _ZN4vllm4gptq33gemm_half_q_half_gptq_3bit_kernelILb1ELi7EEEvPK6__halfPKjS6_S4_PS2_iiiibPKi.kd
    .uniform_work_group_size: 1
    .uses_dynamic_stack: false
    .vgpr_count:     124
    .vgpr_spill_count: 0
    .wavefront_size: 64
  - .agpr_count:     0
    .args:
      - .actual_access:  read_only
        .address_space:  global
        .offset:         0
        .size:           8
        .value_kind:     global_buffer
      - .actual_access:  read_only
        .address_space:  global
        .offset:         8
        .size:           8
        .value_kind:     global_buffer
      - .actual_access:  read_only
        .address_space:  global
        .offset:         16
        .size:           8
        .value_kind:     global_buffer
      - .actual_access:  read_only
        .address_space:  global
        .offset:         24
        .size:           8
        .value_kind:     global_buffer
      - .address_space:  global
        .offset:         32
        .size:           8
        .value_kind:     global_buffer
      - .offset:         40
        .size:           4
        .value_kind:     by_value
      - .offset:         44
        .size:           4
        .value_kind:     by_value
      - .offset:         48
        .size:           4
        .value_kind:     by_value
      - .offset:         52
        .size:           4
        .value_kind:     by_value
      - .offset:         56
        .size:           1
        .value_kind:     by_value
      - .actual_access:  read_only
        .address_space:  global
        .offset:         64
        .size:           8
        .value_kind:     global_buffer
    .group_segment_fixed_size: 1792
    .kernarg_segment_align: 8
    .kernarg_segment_size: 72
    .language:       OpenCL C
    .language_version:
      - 2
      - 0
    .max_flat_workgroup_size: 1024
    .name:           _ZN4vllm4gptq33gemm_half_q_half_gptq_4bit_kernelILb1ELi7EEEvPK6__halfPKjS6_S4_PS2_iiiibPKi
    .private_segment_fixed_size: 136
    .sgpr_count:     36
    .sgpr_spill_count: 0
    .symbol:         _ZN4vllm4gptq33gemm_half_q_half_gptq_4bit_kernelILb1ELi7EEEvPK6__halfPKjS6_S4_PS2_iiiibPKi.kd
    .uniform_work_group_size: 1
    .uses_dynamic_stack: false
    .vgpr_count:     128
    .vgpr_spill_count: 35
    .wavefront_size: 64
  - .agpr_count:     0
    .args:
      - .actual_access:  read_only
        .address_space:  global
        .offset:         0
        .size:           8
        .value_kind:     global_buffer
      - .actual_access:  read_only
        .address_space:  global
        .offset:         8
        .size:           8
        .value_kind:     global_buffer
      - .actual_access:  read_only
        .address_space:  global
        .offset:         16
        .size:           8
        .value_kind:     global_buffer
      - .actual_access:  read_only
        .address_space:  global
        .offset:         24
        .size:           8
        .value_kind:     global_buffer
      - .address_space:  global
        .offset:         32
        .size:           8
        .value_kind:     global_buffer
      - .offset:         40
        .size:           4
        .value_kind:     by_value
      - .offset:         44
        .size:           4
        .value_kind:     by_value
      - .offset:         48
        .size:           4
        .value_kind:     by_value
      - .offset:         52
        .size:           4
        .value_kind:     by_value
      - .offset:         56
        .size:           1
        .value_kind:     by_value
      - .actual_access:  read_only
        .address_space:  global
        .offset:         64
        .size:           8
        .value_kind:     global_buffer
    .group_segment_fixed_size: 1792
    .kernarg_segment_align: 8
    .kernarg_segment_size: 72
    .language:       OpenCL C
    .language_version:
      - 2
      - 0
    .max_flat_workgroup_size: 1024
    .name:           _ZN4vllm4gptq33gemm_half_q_half_gptq_8bit_kernelILb1ELi7EEEvPK6__halfPKjS6_S4_PS2_iiiibPKi
    .private_segment_fixed_size: 524
    .sgpr_count:     36
    .sgpr_spill_count: 0
    .symbol:         _ZN4vllm4gptq33gemm_half_q_half_gptq_8bit_kernelILb1ELi7EEEvPK6__halfPKjS6_S4_PS2_iiiibPKi.kd
    .uniform_work_group_size: 1
    .uses_dynamic_stack: false
    .vgpr_count:     128
    .vgpr_spill_count: 206
    .wavefront_size: 64
  - .agpr_count:     0
    .args:
      - .actual_access:  read_only
        .address_space:  global
        .offset:         0
        .size:           8
        .value_kind:     global_buffer
      - .actual_access:  read_only
        .address_space:  global
        .offset:         8
        .size:           8
        .value_kind:     global_buffer
      - .actual_access:  read_only
        .address_space:  global
        .offset:         16
        .size:           8
        .value_kind:     global_buffer
      - .actual_access:  read_only
        .address_space:  global
        .offset:         24
        .size:           8
        .value_kind:     global_buffer
      - .address_space:  global
        .offset:         32
        .size:           8
        .value_kind:     global_buffer
      - .offset:         40
        .size:           4
        .value_kind:     by_value
      - .offset:         44
        .size:           4
        .value_kind:     by_value
      - .offset:         48
        .size:           4
        .value_kind:     by_value
      - .offset:         52
        .size:           4
        .value_kind:     by_value
      - .offset:         56
        .size:           1
        .value_kind:     by_value
      - .actual_access:  read_only
        .address_space:  global
        .offset:         64
        .size:           8
        .value_kind:     global_buffer
    .group_segment_fixed_size: 2048
    .kernarg_segment_align: 8
    .kernarg_segment_size: 72
    .language:       OpenCL C
    .language_version:
      - 2
      - 0
    .max_flat_workgroup_size: 1024
    .name:           _ZN4vllm4gptq33gemm_half_q_half_gptq_2bit_kernelILb1ELi8EEEvPK6__halfPKjS6_S4_PS2_iiiibPKi
    .private_segment_fixed_size: 0
    .sgpr_count:     30
    .sgpr_spill_count: 0
    .symbol:         _ZN4vllm4gptq33gemm_half_q_half_gptq_2bit_kernelILb1ELi8EEEvPK6__halfPKjS6_S4_PS2_iiiibPKi.kd
    .uniform_work_group_size: 1
    .uses_dynamic_stack: false
    .vgpr_count:     72
    .vgpr_spill_count: 0
    .wavefront_size: 64
  - .agpr_count:     0
    .args:
      - .actual_access:  read_only
        .address_space:  global
        .offset:         0
        .size:           8
        .value_kind:     global_buffer
      - .actual_access:  read_only
        .address_space:  global
        .offset:         8
        .size:           8
        .value_kind:     global_buffer
      - .actual_access:  read_only
        .address_space:  global
        .offset:         16
        .size:           8
        .value_kind:     global_buffer
      - .actual_access:  read_only
        .address_space:  global
        .offset:         24
        .size:           8
        .value_kind:     global_buffer
      - .address_space:  global
        .offset:         32
        .size:           8
        .value_kind:     global_buffer
      - .offset:         40
        .size:           4
        .value_kind:     by_value
      - .offset:         44
        .size:           4
        .value_kind:     by_value
      - .offset:         48
        .size:           4
        .value_kind:     by_value
      - .offset:         52
        .size:           4
        .value_kind:     by_value
      - .offset:         56
        .size:           1
        .value_kind:     by_value
      - .actual_access:  read_only
        .address_space:  global
        .offset:         64
        .size:           8
        .value_kind:     global_buffer
    .group_segment_fixed_size: 2048
    .kernarg_segment_align: 8
    .kernarg_segment_size: 72
    .language:       OpenCL C
    .language_version:
      - 2
      - 0
    .max_flat_workgroup_size: 1024
    .name:           _ZN4vllm4gptq33gemm_half_q_half_gptq_3bit_kernelILb1ELi8EEEvPK6__halfPKjS6_S4_PS2_iiiibPKi
    .private_segment_fixed_size: 0
    .sgpr_count:     44
    .sgpr_spill_count: 0
    .symbol:         _ZN4vllm4gptq33gemm_half_q_half_gptq_3bit_kernelILb1ELi8EEEvPK6__halfPKjS6_S4_PS2_iiiibPKi.kd
    .uniform_work_group_size: 1
    .uses_dynamic_stack: false
    .vgpr_count:     114
    .vgpr_spill_count: 0
    .wavefront_size: 64
  - .agpr_count:     0
    .args:
      - .actual_access:  read_only
        .address_space:  global
        .offset:         0
        .size:           8
        .value_kind:     global_buffer
      - .actual_access:  read_only
        .address_space:  global
        .offset:         8
        .size:           8
        .value_kind:     global_buffer
      - .actual_access:  read_only
        .address_space:  global
        .offset:         16
        .size:           8
        .value_kind:     global_buffer
      - .actual_access:  read_only
        .address_space:  global
        .offset:         24
        .size:           8
        .value_kind:     global_buffer
      - .address_space:  global
        .offset:         32
        .size:           8
        .value_kind:     global_buffer
      - .offset:         40
        .size:           4
        .value_kind:     by_value
      - .offset:         44
        .size:           4
        .value_kind:     by_value
      - .offset:         48
        .size:           4
        .value_kind:     by_value
      - .offset:         52
        .size:           4
        .value_kind:     by_value
      - .offset:         56
        .size:           1
        .value_kind:     by_value
      - .actual_access:  read_only
        .address_space:  global
        .offset:         64
        .size:           8
        .value_kind:     global_buffer
    .group_segment_fixed_size: 2048
    .kernarg_segment_align: 8
    .kernarg_segment_size: 72
    .language:       OpenCL C
    .language_version:
      - 2
      - 0
    .max_flat_workgroup_size: 1024
    .name:           _ZN4vllm4gptq33gemm_half_q_half_gptq_4bit_kernelILb1ELi8EEEvPK6__halfPKjS6_S4_PS2_iiiibPKi
    .private_segment_fixed_size: 188
    .sgpr_count:     36
    .sgpr_spill_count: 0
    .symbol:         _ZN4vllm4gptq33gemm_half_q_half_gptq_4bit_kernelILb1ELi8EEEvPK6__halfPKjS6_S4_PS2_iiiibPKi.kd
    .uniform_work_group_size: 1
    .uses_dynamic_stack: false
    .vgpr_count:     128
    .vgpr_spill_count: 48
    .wavefront_size: 64
  - .agpr_count:     0
    .args:
      - .actual_access:  read_only
        .address_space:  global
        .offset:         0
        .size:           8
        .value_kind:     global_buffer
      - .actual_access:  read_only
        .address_space:  global
        .offset:         8
        .size:           8
        .value_kind:     global_buffer
      - .actual_access:  read_only
        .address_space:  global
        .offset:         16
        .size:           8
        .value_kind:     global_buffer
      - .actual_access:  read_only
        .address_space:  global
        .offset:         24
        .size:           8
        .value_kind:     global_buffer
      - .address_space:  global
        .offset:         32
        .size:           8
        .value_kind:     global_buffer
      - .offset:         40
        .size:           4
        .value_kind:     by_value
      - .offset:         44
        .size:           4
        .value_kind:     by_value
      - .offset:         48
        .size:           4
        .value_kind:     by_value
      - .offset:         52
        .size:           4
        .value_kind:     by_value
      - .offset:         56
        .size:           1
        .value_kind:     by_value
      - .actual_access:  read_only
        .address_space:  global
        .offset:         64
        .size:           8
        .value_kind:     global_buffer
    .group_segment_fixed_size: 2048
    .kernarg_segment_align: 8
    .kernarg_segment_size: 72
    .language:       OpenCL C
    .language_version:
      - 2
      - 0
    .max_flat_workgroup_size: 1024
    .name:           _ZN4vllm4gptq33gemm_half_q_half_gptq_8bit_kernelILb1ELi8EEEvPK6__halfPKjS6_S4_PS2_iiiibPKi
    .private_segment_fixed_size: 588
    .sgpr_count:     36
    .sgpr_spill_count: 0
    .symbol:         _ZN4vllm4gptq33gemm_half_q_half_gptq_8bit_kernelILb1ELi8EEEvPK6__halfPKjS6_S4_PS2_iiiibPKi.kd
    .uniform_work_group_size: 1
    .uses_dynamic_stack: false
    .vgpr_count:     128
    .vgpr_spill_count: 257
    .wavefront_size: 64
  - .agpr_count:     0
    .args:
      - .actual_access:  read_only
        .address_space:  global
        .offset:         0
        .size:           8
        .value_kind:     global_buffer
      - .actual_access:  read_only
        .address_space:  global
        .offset:         8
        .size:           8
        .value_kind:     global_buffer
      - .actual_access:  read_only
        .address_space:  global
        .offset:         16
        .size:           8
        .value_kind:     global_buffer
      - .actual_access:  read_only
        .address_space:  global
        .offset:         24
        .size:           8
        .value_kind:     global_buffer
      - .offset:         32
        .size:           4
        .value_kind:     by_value
      - .offset:         36
        .size:           4
        .value_kind:     by_value
      - .offset:         40
        .size:           4
        .value_kind:     by_value
      - .offset:         44
        .size:           1
        .value_kind:     by_value
      - .actual_access:  write_only
        .address_space:  global
        .offset:         48
        .size:           8
        .value_kind:     global_buffer
    .group_segment_fixed_size: 0
    .kernarg_segment_align: 8
    .kernarg_segment_size: 56
    .language:       OpenCL C
    .language_version:
      - 2
      - 0
    .max_flat_workgroup_size: 1024
    .name:           _ZN4vllm4gptq23reconstruct_gptq_kernelINS0_17MatrixView_q4_rowELi4EEEvPKjPK6__halfS4_PKiiiibPS5_
    .private_segment_fixed_size: 0
    .sgpr_count:     28
    .sgpr_spill_count: 0
    .symbol:         _ZN4vllm4gptq23reconstruct_gptq_kernelINS0_17MatrixView_q4_rowELi4EEEvPKjPK6__halfS4_PKiiiibPS5_.kd
    .uniform_work_group_size: 1
    .uses_dynamic_stack: false
    .vgpr_count:     27
    .vgpr_spill_count: 0
    .wavefront_size: 64
  - .agpr_count:     0
    .args:
      - .actual_access:  read_only
        .address_space:  global
        .offset:         0
        .size:           8
        .value_kind:     global_buffer
      - .actual_access:  read_only
        .address_space:  global
        .offset:         8
        .size:           8
        .value_kind:     global_buffer
      - .actual_access:  read_only
        .address_space:  global
        .offset:         16
        .size:           8
        .value_kind:     global_buffer
      - .actual_access:  read_only
        .address_space:  global
        .offset:         24
        .size:           8
        .value_kind:     global_buffer
      - .offset:         32
        .size:           4
        .value_kind:     by_value
      - .offset:         36
        .size:           4
        .value_kind:     by_value
      - .offset:         40
        .size:           4
        .value_kind:     by_value
      - .offset:         44
        .size:           1
        .value_kind:     by_value
      - .actual_access:  write_only
        .address_space:  global
        .offset:         48
        .size:           8
        .value_kind:     global_buffer
    .group_segment_fixed_size: 0
    .kernarg_segment_align: 8
    .kernarg_segment_size: 56
    .language:       OpenCL C
    .language_version:
      - 2
      - 0
    .max_flat_workgroup_size: 1024
    .name:           _ZN4vllm4gptq23reconstruct_gptq_kernelINS0_17MatrixView_q2_rowELi2EEEvPKjPK6__halfS4_PKiiiibPS5_
    .private_segment_fixed_size: 0
    .sgpr_count:     30
    .sgpr_spill_count: 0
    .symbol:         _ZN4vllm4gptq23reconstruct_gptq_kernelINS0_17MatrixView_q2_rowELi2EEEvPKjPK6__halfS4_PKiiiibPS5_.kd
    .uniform_work_group_size: 1
    .uses_dynamic_stack: false
    .vgpr_count:     27
    .vgpr_spill_count: 0
    .wavefront_size: 64
  - .agpr_count:     0
    .args:
      - .actual_access:  read_only
        .address_space:  global
        .offset:         0
        .size:           8
        .value_kind:     global_buffer
      - .actual_access:  read_only
        .address_space:  global
        .offset:         8
        .size:           8
        .value_kind:     global_buffer
      - .actual_access:  read_only
        .address_space:  global
        .offset:         16
        .size:           8
        .value_kind:     global_buffer
      - .actual_access:  read_only
        .address_space:  global
        .offset:         24
        .size:           8
        .value_kind:     global_buffer
      - .offset:         32
        .size:           4
        .value_kind:     by_value
      - .offset:         36
        .size:           4
        .value_kind:     by_value
      - .offset:         40
        .size:           4
        .value_kind:     by_value
      - .offset:         44
        .size:           1
        .value_kind:     by_value
      - .actual_access:  write_only
        .address_space:  global
        .offset:         48
        .size:           8
        .value_kind:     global_buffer
    .group_segment_fixed_size: 0
    .kernarg_segment_align: 8
    .kernarg_segment_size: 56
    .language:       OpenCL C
    .language_version:
      - 2
      - 0
    .max_flat_workgroup_size: 1024
    .name:           _ZN4vllm4gptq23reconstruct_gptq_kernelINS0_17MatrixView_q8_rowELi8EEEvPKjPK6__halfS4_PKiiiibPS5_
    .private_segment_fixed_size: 0
    .sgpr_count:     24
    .sgpr_spill_count: 0
    .symbol:         _ZN4vllm4gptq23reconstruct_gptq_kernelINS0_17MatrixView_q8_rowELi8EEEvPKjPK6__halfS4_PKiiiibPS5_.kd
    .uniform_work_group_size: 1
    .uses_dynamic_stack: false
    .vgpr_count:     16
    .vgpr_spill_count: 0
    .wavefront_size: 64
amdhsa.target:   amdgcn-amd-amdhsa--gfx90a
amdhsa.version:
  - 1
  - 2
...

	.end_amdgpu_metadata
